;; amdgpu-corpus repo=ROCm/rocFFT kind=compiled arch=gfx950 opt=O3
	.text
	.amdgcn_target "amdgcn-amd-amdhsa--gfx950"
	.amdhsa_code_object_version 6
	.protected	fft_rtc_back_len1445_factors_17_5_17_wgs_85_tpt_85_halfLds_dp_ip_CI_sbrr_dirReg ; -- Begin function fft_rtc_back_len1445_factors_17_5_17_wgs_85_tpt_85_halfLds_dp_ip_CI_sbrr_dirReg
	.globl	fft_rtc_back_len1445_factors_17_5_17_wgs_85_tpt_85_halfLds_dp_ip_CI_sbrr_dirReg
	.p2align	8
	.type	fft_rtc_back_len1445_factors_17_5_17_wgs_85_tpt_85_halfLds_dp_ip_CI_sbrr_dirReg,@function
fft_rtc_back_len1445_factors_17_5_17_wgs_85_tpt_85_halfLds_dp_ip_CI_sbrr_dirReg: ; @fft_rtc_back_len1445_factors_17_5_17_wgs_85_tpt_85_halfLds_dp_ip_CI_sbrr_dirReg
; %bb.0:
	s_load_dwordx2 s[12:13], s[0:1], 0x18
	s_load_dwordx4 s[4:7], s[0:1], 0x0
	s_load_dwordx2 s[10:11], s[0:1], 0x50
	v_mul_u32_u24_e32 v1, 0x304, v0
	v_add_u32_sdwa v6, s2, v1 dst_sel:DWORD dst_unused:UNUSED_PAD src0_sel:DWORD src1_sel:WORD_1
	s_waitcnt lgkmcnt(0)
	s_load_dwordx2 s[8:9], s[12:13], 0x0
	v_mov_b32_e32 v4, 0
	v_cmp_lt_u64_e64 s[2:3], s[6:7], 2
	v_mov_b32_e32 v7, v4
	s_and_b64 vcc, exec, s[2:3]
	v_mov_b64_e32 v[2:3], 0
	s_cbranch_vccnz .LBB0_8
; %bb.1:
	s_load_dwordx2 s[2:3], s[0:1], 0x10
	s_add_u32 s14, s12, 8
	s_addc_u32 s15, s13, 0
	s_mov_b64 s[16:17], 1
	v_mov_b64_e32 v[2:3], 0
	s_waitcnt lgkmcnt(0)
	s_add_u32 s18, s2, 8
	s_addc_u32 s19, s3, 0
.LBB0_2:                                ; =>This Inner Loop Header: Depth=1
	s_load_dwordx2 s[20:21], s[18:19], 0x0
                                        ; implicit-def: $vgpr8_vgpr9
	s_waitcnt lgkmcnt(0)
	v_or_b32_e32 v5, s21, v7
	v_cmp_ne_u64_e32 vcc, 0, v[4:5]
	s_and_saveexec_b64 s[2:3], vcc
	s_xor_b64 s[22:23], exec, s[2:3]
	s_cbranch_execz .LBB0_4
; %bb.3:                                ;   in Loop: Header=BB0_2 Depth=1
	v_cvt_f32_u32_e32 v1, s20
	v_cvt_f32_u32_e32 v5, s21
	s_sub_u32 s2, 0, s20
	s_subb_u32 s3, 0, s21
	v_fmac_f32_e32 v1, 0x4f800000, v5
	v_rcp_f32_e32 v1, v1
	s_nop 0
	v_mul_f32_e32 v1, 0x5f7ffffc, v1
	v_mul_f32_e32 v5, 0x2f800000, v1
	v_trunc_f32_e32 v5, v5
	v_fmac_f32_e32 v1, 0xcf800000, v5
	v_cvt_u32_f32_e32 v5, v5
	v_cvt_u32_f32_e32 v1, v1
	v_mul_lo_u32 v8, s2, v5
	v_mul_hi_u32 v10, s2, v1
	v_mul_lo_u32 v9, s3, v1
	v_add_u32_e32 v10, v10, v8
	v_mul_lo_u32 v12, s2, v1
	v_add_u32_e32 v13, v10, v9
	v_mul_hi_u32 v8, v1, v12
	v_mul_hi_u32 v11, v1, v13
	v_mul_lo_u32 v10, v1, v13
	v_mov_b32_e32 v9, v4
	v_lshl_add_u64 v[8:9], v[8:9], 0, v[10:11]
	v_mul_hi_u32 v11, v5, v12
	v_mul_lo_u32 v12, v5, v12
	v_add_co_u32_e32 v8, vcc, v8, v12
	v_mul_hi_u32 v10, v5, v13
	s_nop 0
	v_addc_co_u32_e32 v8, vcc, v9, v11, vcc
	v_mov_b32_e32 v9, v4
	s_nop 0
	v_addc_co_u32_e32 v11, vcc, 0, v10, vcc
	v_mul_lo_u32 v10, v5, v13
	v_lshl_add_u64 v[8:9], v[8:9], 0, v[10:11]
	v_add_co_u32_e32 v1, vcc, v1, v8
	v_mul_lo_u32 v10, s2, v1
	s_nop 0
	v_addc_co_u32_e32 v5, vcc, v5, v9, vcc
	v_mul_lo_u32 v8, s2, v5
	v_mul_hi_u32 v9, s2, v1
	v_add_u32_e32 v8, v9, v8
	v_mul_lo_u32 v9, s3, v1
	v_add_u32_e32 v12, v8, v9
	v_mul_hi_u32 v14, v5, v10
	v_mul_lo_u32 v15, v5, v10
	v_mul_hi_u32 v9, v1, v12
	v_mul_lo_u32 v8, v1, v12
	v_mul_hi_u32 v10, v1, v10
	v_mov_b32_e32 v11, v4
	v_lshl_add_u64 v[8:9], v[10:11], 0, v[8:9]
	v_add_co_u32_e32 v8, vcc, v8, v15
	v_mul_hi_u32 v13, v5, v12
	s_nop 0
	v_addc_co_u32_e32 v8, vcc, v9, v14, vcc
	v_mul_lo_u32 v10, v5, v12
	s_nop 0
	v_addc_co_u32_e32 v11, vcc, 0, v13, vcc
	v_mov_b32_e32 v9, v4
	v_lshl_add_u64 v[8:9], v[8:9], 0, v[10:11]
	v_add_co_u32_e32 v1, vcc, v1, v8
	v_mul_hi_u32 v10, v6, v1
	s_nop 0
	v_addc_co_u32_e32 v5, vcc, v5, v9, vcc
	v_mad_u64_u32 v[8:9], s[2:3], v6, v5, 0
	v_mov_b32_e32 v11, v4
	v_lshl_add_u64 v[8:9], v[10:11], 0, v[8:9]
	v_mad_u64_u32 v[12:13], s[2:3], v7, v1, 0
	v_add_co_u32_e32 v1, vcc, v8, v12
	v_mad_u64_u32 v[10:11], s[2:3], v7, v5, 0
	s_nop 0
	v_addc_co_u32_e32 v8, vcc, v9, v13, vcc
	v_mov_b32_e32 v9, v4
	s_nop 0
	v_addc_co_u32_e32 v11, vcc, 0, v11, vcc
	v_lshl_add_u64 v[8:9], v[8:9], 0, v[10:11]
	v_mul_lo_u32 v1, s21, v8
	v_mul_lo_u32 v5, s20, v9
	v_mad_u64_u32 v[10:11], s[2:3], s20, v8, 0
	v_add3_u32 v1, v11, v5, v1
	v_sub_u32_e32 v5, v7, v1
	v_mov_b32_e32 v11, s21
	v_sub_co_u32_e32 v14, vcc, v6, v10
	v_lshl_add_u64 v[12:13], v[8:9], 0, 1
	s_nop 0
	v_subb_co_u32_e64 v5, s[2:3], v5, v11, vcc
	v_subrev_co_u32_e64 v10, s[2:3], s20, v14
	v_subb_co_u32_e32 v1, vcc, v7, v1, vcc
	s_nop 0
	v_subbrev_co_u32_e64 v5, s[2:3], 0, v5, s[2:3]
	v_cmp_le_u32_e64 s[2:3], s21, v5
	v_cmp_le_u32_e32 vcc, s21, v1
	s_nop 0
	v_cndmask_b32_e64 v11, 0, -1, s[2:3]
	v_cmp_le_u32_e64 s[2:3], s20, v10
	s_nop 1
	v_cndmask_b32_e64 v10, 0, -1, s[2:3]
	v_cmp_eq_u32_e64 s[2:3], s21, v5
	s_nop 1
	v_cndmask_b32_e64 v5, v11, v10, s[2:3]
	v_lshl_add_u64 v[10:11], v[8:9], 0, 2
	v_cmp_ne_u32_e64 s[2:3], 0, v5
	s_nop 1
	v_cndmask_b32_e64 v5, v13, v11, s[2:3]
	v_cndmask_b32_e64 v11, 0, -1, vcc
	v_cmp_le_u32_e32 vcc, s20, v14
	s_nop 1
	v_cndmask_b32_e64 v13, 0, -1, vcc
	v_cmp_eq_u32_e32 vcc, s21, v1
	s_nop 1
	v_cndmask_b32_e32 v1, v11, v13, vcc
	v_cmp_ne_u32_e32 vcc, 0, v1
	v_cndmask_b32_e64 v1, v12, v10, s[2:3]
	s_nop 0
	v_cndmask_b32_e32 v9, v9, v5, vcc
	v_cndmask_b32_e32 v8, v8, v1, vcc
.LBB0_4:                                ;   in Loop: Header=BB0_2 Depth=1
	s_andn2_saveexec_b64 s[2:3], s[22:23]
	s_cbranch_execz .LBB0_6
; %bb.5:                                ;   in Loop: Header=BB0_2 Depth=1
	v_cvt_f32_u32_e32 v1, s20
	s_sub_i32 s22, 0, s20
	v_rcp_iflag_f32_e32 v1, v1
	s_nop 0
	v_mul_f32_e32 v1, 0x4f7ffffe, v1
	v_cvt_u32_f32_e32 v1, v1
	v_mul_lo_u32 v5, s22, v1
	v_mul_hi_u32 v5, v1, v5
	v_add_u32_e32 v1, v1, v5
	v_mul_hi_u32 v1, v6, v1
	v_mul_lo_u32 v5, v1, s20
	v_sub_u32_e32 v5, v6, v5
	v_add_u32_e32 v8, 1, v1
	v_subrev_u32_e32 v9, s20, v5
	v_cmp_le_u32_e32 vcc, s20, v5
	s_nop 1
	v_cndmask_b32_e32 v5, v5, v9, vcc
	v_cndmask_b32_e32 v1, v1, v8, vcc
	v_add_u32_e32 v8, 1, v1
	v_cmp_le_u32_e32 vcc, s20, v5
	v_mov_b32_e32 v9, v4
	s_nop 0
	v_cndmask_b32_e32 v8, v1, v8, vcc
.LBB0_6:                                ;   in Loop: Header=BB0_2 Depth=1
	s_or_b64 exec, exec, s[2:3]
	v_mad_u64_u32 v[10:11], s[2:3], v8, s20, 0
	s_load_dwordx2 s[2:3], s[14:15], 0x0
	v_mul_lo_u32 v1, v9, s20
	v_mul_lo_u32 v5, v8, s21
	v_add3_u32 v1, v11, v5, v1
	v_sub_co_u32_e32 v5, vcc, v6, v10
	s_add_u32 s16, s16, 1
	s_nop 0
	v_subb_co_u32_e32 v1, vcc, v7, v1, vcc
	s_addc_u32 s17, s17, 0
	s_waitcnt lgkmcnt(0)
	v_mul_lo_u32 v1, s2, v1
	v_mul_lo_u32 v6, s3, v5
	v_mad_u64_u32 v[2:3], s[2:3], s2, v5, v[2:3]
	s_add_u32 s14, s14, 8
	v_add3_u32 v3, v6, v3, v1
	s_addc_u32 s15, s15, 0
	v_mov_b64_e32 v[6:7], s[6:7]
	s_add_u32 s18, s18, 8
	v_cmp_ge_u64_e32 vcc, s[16:17], v[6:7]
	s_addc_u32 s19, s19, 0
	s_cbranch_vccnz .LBB0_9
; %bb.7:                                ;   in Loop: Header=BB0_2 Depth=1
	v_mov_b64_e32 v[6:7], v[8:9]
	s_branch .LBB0_2
.LBB0_8:
	v_mov_b64_e32 v[8:9], v[6:7]
.LBB0_9:
	s_lshl_b64 s[2:3], s[6:7], 3
	s_add_u32 s2, s12, s2
	s_addc_u32 s3, s13, s3
	s_load_dwordx2 s[6:7], s[2:3], 0x0
	s_load_dwordx2 s[12:13], s[0:1], 0x20
	s_mov_b32 s2, 0x3030304
                                        ; implicit-def: $vgpr116
                                        ; implicit-def: $vgpr115
                                        ; implicit-def: $vgpr114
	s_waitcnt lgkmcnt(0)
	v_mul_lo_u32 v1, s6, v9
	v_mul_lo_u32 v4, s7, v8
	v_mad_u64_u32 v[2:3], s[0:1], s6, v8, v[2:3]
	v_add3_u32 v3, v4, v3, v1
	v_mul_hi_u32 v1, v0, s2
	v_mul_u32_u24_e32 v1, 0x55, v1
	v_cmp_gt_u64_e32 vcc, s[12:13], v[8:9]
	v_cmp_le_u64_e64 s[0:1], s[12:13], v[8:9]
	v_sub_u32_e32 v126, v0, v1
                                        ; implicit-def: $sgpr2
	s_and_saveexec_b64 s[6:7], s[0:1]
	s_xor_b64 s[0:1], exec, s[6:7]
; %bb.10:
	v_add_u32_e32 v116, 0x55, v126
	v_add_u32_e32 v115, 0xaa, v126
	;; [unrolled: 1-line block ×3, first 2 shown]
	s_mov_b32 s2, 0
; %bb.11:
	s_or_saveexec_b64 s[0:1], s[0:1]
	v_mov_b32_e32 v186, s2
	v_lshl_add_u64 v[92:93], v[2:3], 4, s[10:11]
                                        ; implicit-def: $vgpr66_vgpr67
                                        ; implicit-def: $vgpr62_vgpr63
                                        ; implicit-def: $vgpr58_vgpr59
                                        ; implicit-def: $vgpr54_vgpr55
                                        ; implicit-def: $vgpr50_vgpr51
                                        ; implicit-def: $vgpr46_vgpr47
                                        ; implicit-def: $vgpr42_vgpr43
                                        ; implicit-def: $vgpr18_vgpr19
                                        ; implicit-def: $vgpr14_vgpr15
                                        ; implicit-def: $vgpr2_vgpr3
                                        ; implicit-def: $vgpr6_vgpr7
                                        ; implicit-def: $vgpr10_vgpr11
                                        ; implicit-def: $vgpr22_vgpr23
                                        ; implicit-def: $vgpr26_vgpr27
                                        ; implicit-def: $vgpr34_vgpr35
                                        ; implicit-def: $vgpr38_vgpr39
                                        ; implicit-def: $vgpr30_vgpr31
	s_xor_b64 exec, exec, s[0:1]
	s_cbranch_execz .LBB0_13
; %bb.12:
	v_mad_u64_u32 v[0:1], s[2:3], s8, v126, 0
	v_mov_b32_e32 v2, v1
	v_mad_u64_u32 v[2:3], s[2:3], s9, v126, v[2:3]
	v_add_u32_e32 v116, 0x55, v126
	v_mov_b32_e32 v1, v2
	v_mad_u64_u32 v[2:3], s[2:3], s8, v116, 0
	v_mov_b32_e32 v4, v3
	v_mad_u64_u32 v[4:5], s[2:3], s9, v116, v[4:5]
	v_lshl_add_u64 v[0:1], v[0:1], 4, v[92:93]
	v_mov_b32_e32 v3, v4
	v_add_u32_e32 v115, 0xaa, v126
	v_lshl_add_u64 v[2:3], v[2:3], 4, v[92:93]
	global_load_dwordx4 v[28:31], v[0:1], off
	global_load_dwordx4 v[36:39], v[2:3], off
	v_mad_u64_u32 v[0:1], s[2:3], s8, v115, 0
	v_mov_b32_e32 v2, v1
	v_mad_u64_u32 v[2:3], s[2:3], s9, v115, v[2:3]
	v_add_u32_e32 v114, 0xff, v126
	v_mov_b32_e32 v1, v2
	v_mad_u64_u32 v[2:3], s[2:3], s8, v114, 0
	v_mov_b32_e32 v4, v3
	v_mad_u64_u32 v[4:5], s[2:3], s9, v114, v[4:5]
	v_mov_b32_e32 v3, v4
	v_lshl_add_u64 v[0:1], v[0:1], 4, v[92:93]
	v_lshl_add_u64 v[2:3], v[2:3], 4, v[92:93]
	global_load_dwordx4 v[32:35], v[0:1], off
	global_load_dwordx4 v[24:27], v[2:3], off
	v_add_u32_e32 v3, 0x154, v126
	v_mad_u64_u32 v[0:1], s[2:3], s8, v3, 0
	v_mov_b32_e32 v2, v1
	v_mad_u64_u32 v[2:3], s[2:3], s9, v3, v[2:3]
	v_add_u32_e32 v5, 0x1a9, v126
	v_mov_b32_e32 v1, v2
	v_mad_u64_u32 v[2:3], s[2:3], s8, v5, 0
	v_mov_b32_e32 v4, v3
	v_mad_u64_u32 v[4:5], s[2:3], s9, v5, v[4:5]
	v_mov_b32_e32 v3, v4
	v_lshl_add_u64 v[0:1], v[0:1], 4, v[92:93]
	v_lshl_add_u64 v[2:3], v[2:3], 4, v[92:93]
	global_load_dwordx4 v[20:23], v[0:1], off
	global_load_dwordx4 v[8:11], v[2:3], off
	v_add_u32_e32 v3, 0x1fe, v126
	v_mad_u64_u32 v[0:1], s[2:3], s8, v3, 0
	v_mov_b32_e32 v2, v1
	v_mad_u64_u32 v[2:3], s[2:3], s9, v3, v[2:3]
	v_mov_b32_e32 v1, v2
	v_add_u32_e32 v3, 0x253, v126
	v_lshl_add_u64 v[12:13], v[0:1], 4, v[92:93]
	v_mad_u64_u32 v[0:1], s[2:3], s8, v3, 0
	v_mov_b32_e32 v2, v1
	v_mad_u64_u32 v[2:3], s[2:3], s9, v3, v[2:3]
	v_mov_b32_e32 v1, v2
	v_lshl_add_u64 v[14:15], v[0:1], 4, v[92:93]
	global_load_dwordx4 v[4:7], v[12:13], off
	global_load_dwordx4 v[0:3], v[14:15], off
	v_add_u32_e32 v15, 0x2a8, v126
	v_mad_u64_u32 v[12:13], s[2:3], s8, v15, 0
	v_mov_b32_e32 v14, v13
	v_mad_u64_u32 v[14:15], s[2:3], s9, v15, v[14:15]
	v_mov_b32_e32 v13, v14
	v_add_u32_e32 v15, 0x2fd, v126
	v_lshl_add_u64 v[40:41], v[12:13], 4, v[92:93]
	v_mad_u64_u32 v[12:13], s[2:3], s8, v15, 0
	v_mov_b32_e32 v14, v13
	v_mad_u64_u32 v[14:15], s[2:3], s9, v15, v[14:15]
	v_mov_b32_e32 v13, v14
	v_lshl_add_u64 v[42:43], v[12:13], 4, v[92:93]
	v_add_u32_e32 v13, 0x352, v126
	v_mad_u64_u32 v[44:45], s[2:3], s8, v13, 0
	v_mov_b32_e32 v12, v45
	v_mad_u64_u32 v[12:13], s[2:3], s9, v13, v[12:13]
	v_add_u32_e32 v13, 0x3a7, v126
	v_mad_u64_u32 v[46:47], s[2:3], s8, v13, 0
	v_mov_b32_e32 v45, v12
	v_mov_b32_e32 v12, v47
	v_mad_u64_u32 v[12:13], s[2:3], s9, v13, v[12:13]
	v_add_u32_e32 v13, 0x3fc, v126
	v_mad_u64_u32 v[48:49], s[2:3], s8, v13, 0
	v_mov_b32_e32 v47, v12
	v_mov_b32_e32 v12, v49
	v_mad_u64_u32 v[12:13], s[2:3], s9, v13, v[12:13]
	v_add_u32_e32 v13, 0x451, v126
	v_mad_u64_u32 v[50:51], s[2:3], s8, v13, 0
	v_mov_b32_e32 v49, v12
	v_mov_b32_e32 v12, v51
	v_mad_u64_u32 v[12:13], s[2:3], s9, v13, v[12:13]
	v_add_u32_e32 v13, 0x4a6, v126
	v_mad_u64_u32 v[52:53], s[2:3], s8, v13, 0
	v_mov_b32_e32 v51, v12
	v_mov_b32_e32 v12, v53
	v_mad_u64_u32 v[12:13], s[2:3], s9, v13, v[12:13]
	v_add_u32_e32 v13, 0x4fb, v126
	v_mad_u64_u32 v[54:55], s[2:3], s8, v13, 0
	v_mov_b32_e32 v53, v12
	v_mov_b32_e32 v12, v55
	v_mad_u64_u32 v[12:13], s[2:3], s9, v13, v[12:13]
	v_add_u32_e32 v13, 0x550, v126
	v_mad_u64_u32 v[56:57], s[2:3], s8, v13, 0
	v_mov_b32_e32 v55, v12
	v_mov_b32_e32 v12, v57
	v_mad_u64_u32 v[12:13], s[2:3], s9, v13, v[12:13]
	v_mov_b32_e32 v57, v12
	v_lshl_add_u64 v[68:69], v[44:45], 4, v[92:93]
	global_load_dwordx4 v[12:15], v[40:41], off
	global_load_dwordx4 v[16:19], v[42:43], off
	v_lshl_add_u64 v[70:71], v[46:47], 4, v[92:93]
	v_lshl_add_u64 v[72:73], v[48:49], 4, v[92:93]
	;; [unrolled: 1-line block ×6, first 2 shown]
	global_load_dwordx4 v[40:43], v[68:69], off
	global_load_dwordx4 v[44:47], v[70:71], off
	;; [unrolled: 1-line block ×7, first 2 shown]
	v_mov_b32_e32 v186, v126
.LBB0_13:
	s_or_b64 exec, exec, s[0:1]
	s_mov_b32 s22, 0x5d8e7cdc
	s_mov_b32 s36, 0x2a9d6da3
	;; [unrolled: 1-line block ×8, first 2 shown]
	s_waitcnt vmcnt(0)
	v_add_f64 v[72:73], v[38:39], -v[66:67]
	s_mov_b32 s23, 0xbfd71e95
	s_mov_b32 s16, 0x370991
	;; [unrolled: 1-line block ×16, first 2 shown]
	v_add_f64 v[70:71], v[64:65], v[36:37]
	v_mul_f64 v[74:75], v[72:73], s[22:23]
	s_mov_b32 s17, 0x3fedd6d0
	v_mul_f64 v[78:79], v[72:73], s[36:37]
	s_mov_b32 s15, 0x3fe7a5f6
	v_mul_f64 v[82:83], v[72:73], s[40:41]
	s_mov_b32 s7, 0x3fdc86fa
	v_mul_f64 v[86:87], v[72:73], s[34:35]
	s_mov_b32 s3, 0x3fb79ee6
	v_mul_f64 v[90:91], v[72:73], s[12:13]
	s_mov_b32 s11, 0xbfd183b1
	v_mul_f64 v[96:97], v[72:73], s[20:21]
	s_mov_b32 s19, 0xbfe348c8
	v_mul_f64 v[100:101], v[72:73], s[26:27]
	s_mov_b32 s25, 0xbfeb34fa
	v_mul_f64 v[72:73], v[72:73], s[30:31]
	s_mov_b32 s29, 0xbfef7484
	v_fma_f64 v[76:77], s[16:17], v[70:71], v[74:75]
	v_fma_f64 v[74:75], v[70:71], s[16:17], -v[74:75]
	v_fma_f64 v[80:81], s[14:15], v[70:71], v[78:79]
	v_fma_f64 v[78:79], v[70:71], s[14:15], -v[78:79]
	;; [unrolled: 2-line block ×8, first 2 shown]
	v_add_f64 v[72:73], v[34:35], -v[62:63]
	v_add_f64 v[68:69], v[36:37], v[28:29]
	v_add_f64 v[76:77], v[28:29], v[76:77]
	;; [unrolled: 1-line block ×18, first 2 shown]
	v_mul_f64 v[106:107], v[72:73], s[36:37]
	v_fma_f64 v[108:109], s[14:15], v[70:71], v[106:107]
	v_fma_f64 v[106:107], v[70:71], s[14:15], -v[106:107]
	v_add_f64 v[74:75], v[106:107], v[74:75]
	v_mul_f64 v[106:107], v[72:73], s[34:35]
	v_add_f64 v[76:77], v[108:109], v[76:77]
	v_fma_f64 v[108:109], s[2:3], v[70:71], v[106:107]
	v_fma_f64 v[106:107], v[70:71], s[2:3], -v[106:107]
	v_add_f64 v[78:79], v[106:107], v[78:79]
	v_mul_f64 v[106:107], v[72:73], s[20:21]
	v_add_f64 v[80:81], v[108:109], v[80:81]
	v_fma_f64 v[108:109], s[18:19], v[70:71], v[106:107]
	v_fma_f64 v[106:107], v[70:71], s[18:19], -v[106:107]
	v_add_f64 v[82:83], v[106:107], v[82:83]
	v_mul_f64 v[106:107], v[72:73], s[30:31]
	v_add_f64 v[84:85], v[108:109], v[84:85]
	v_fma_f64 v[108:109], s[28:29], v[70:71], v[106:107]
	v_fma_f64 v[106:107], v[70:71], s[28:29], -v[106:107]
	s_mov_b32 s49, 0x3fe0d888
	s_mov_b32 s48, s26
	v_add_f64 v[86:87], v[106:107], v[86:87]
	v_mul_f64 v[106:107], v[72:73], s[48:49]
	v_add_f64 v[88:89], v[108:109], v[88:89]
	v_fma_f64 v[108:109], s[24:25], v[70:71], v[106:107]
	v_fma_f64 v[106:107], v[70:71], s[24:25], -v[106:107]
	s_mov_b32 s47, 0x3feec746
	s_mov_b32 s46, s12
	v_add_f64 v[90:91], v[106:107], v[90:91]
	v_mul_f64 v[106:107], v[72:73], s[46:47]
	v_add_f64 v[94:95], v[108:109], v[94:95]
	v_fma_f64 v[108:109], s[10:11], v[70:71], v[106:107]
	v_fma_f64 v[106:107], v[70:71], s[10:11], -v[106:107]
	s_mov_b32 s39, 0x3feca52d
	s_mov_b32 s38, s40
	v_add_f64 v[96:97], v[106:107], v[96:97]
	v_mul_f64 v[106:107], v[72:73], s[38:39]
	s_mov_b32 s43, 0x3fd71e95
	s_mov_b32 s42, s22
	v_add_f64 v[98:99], v[108:109], v[98:99]
	v_fma_f64 v[108:109], s[6:7], v[70:71], v[106:107]
	v_fma_f64 v[106:107], v[70:71], s[6:7], -v[106:107]
	v_mul_f64 v[72:73], v[72:73], s[42:43]
	v_add_f64 v[100:101], v[106:107], v[100:101]
	v_fma_f64 v[106:107], s[16:17], v[70:71], v[72:73]
	v_fma_f64 v[70:71], v[70:71], s[16:17], -v[72:73]
	v_add_f64 v[72:73], v[26:27], -v[58:59]
	v_add_f64 v[104:105], v[106:107], v[104:105]
	v_add_f64 v[28:29], v[70:71], v[28:29]
	;; [unrolled: 1-line block ×3, first 2 shown]
	v_mul_f64 v[106:107], v[72:73], s[40:41]
	v_add_f64 v[102:103], v[108:109], v[102:103]
	v_fma_f64 v[108:109], s[6:7], v[70:71], v[106:107]
	v_fma_f64 v[106:107], v[70:71], s[6:7], -v[106:107]
	v_add_f64 v[74:75], v[106:107], v[74:75]
	v_mul_f64 v[106:107], v[72:73], s[20:21]
	v_add_f64 v[76:77], v[108:109], v[76:77]
	v_fma_f64 v[108:109], s[18:19], v[70:71], v[106:107]
	v_fma_f64 v[106:107], v[70:71], s[18:19], -v[106:107]
	s_mov_b32 s55, 0x3fc7851a
	s_mov_b32 s54, s30
	v_add_f64 v[78:79], v[106:107], v[78:79]
	v_mul_f64 v[106:107], v[72:73], s[54:55]
	v_add_f64 v[80:81], v[108:109], v[80:81]
	v_fma_f64 v[108:109], s[28:29], v[70:71], v[106:107]
	v_fma_f64 v[106:107], v[70:71], s[28:29], -v[106:107]
	v_add_f64 v[82:83], v[106:107], v[82:83]
	v_mul_f64 v[106:107], v[72:73], s[46:47]
	v_add_f64 v[84:85], v[108:109], v[84:85]
	v_fma_f64 v[108:109], s[10:11], v[70:71], v[106:107]
	v_fma_f64 v[106:107], v[70:71], s[10:11], -v[106:107]
	s_mov_b32 s45, 0x3fe58eea
	s_mov_b32 s44, s36
	v_add_f64 v[86:87], v[106:107], v[86:87]
	v_mul_f64 v[106:107], v[72:73], s[44:45]
	v_add_f64 v[88:89], v[108:109], v[88:89]
	v_fma_f64 v[108:109], s[14:15], v[70:71], v[106:107]
	v_fma_f64 v[106:107], v[70:71], s[14:15], -v[106:107]
	v_add_f64 v[90:91], v[106:107], v[90:91]
	v_mul_f64 v[106:107], v[72:73], s[22:23]
	v_add_f64 v[94:95], v[108:109], v[94:95]
	v_fma_f64 v[108:109], s[16:17], v[70:71], v[106:107]
	v_fma_f64 v[106:107], v[70:71], s[16:17], -v[106:107]
	;; [unrolled: 5-line block ×3, first 2 shown]
	v_mul_f64 v[72:73], v[72:73], s[26:27]
	v_add_f64 v[100:101], v[106:107], v[100:101]
	v_fma_f64 v[106:107], s[24:25], v[70:71], v[72:73]
	v_fma_f64 v[70:71], v[70:71], s[24:25], -v[72:73]
	v_add_f64 v[72:73], v[22:23], -v[54:55]
	v_add_f64 v[104:105], v[106:107], v[104:105]
	v_add_f64 v[28:29], v[70:71], v[28:29]
	;; [unrolled: 1-line block ×3, first 2 shown]
	v_mul_f64 v[106:107], v[72:73], s[34:35]
	v_add_f64 v[102:103], v[108:109], v[102:103]
	v_fma_f64 v[108:109], s[2:3], v[70:71], v[106:107]
	v_fma_f64 v[106:107], v[70:71], s[2:3], -v[106:107]
	v_add_f64 v[74:75], v[106:107], v[74:75]
	v_mul_f64 v[106:107], v[72:73], s[30:31]
	v_add_f64 v[76:77], v[108:109], v[76:77]
	v_fma_f64 v[108:109], s[28:29], v[70:71], v[106:107]
	v_fma_f64 v[106:107], v[70:71], s[28:29], -v[106:107]
	v_add_f64 v[78:79], v[106:107], v[78:79]
	;; [unrolled: 5-line block ×5, first 2 shown]
	v_mul_f64 v[106:107], v[72:73], s[26:27]
	v_add_f64 v[94:95], v[108:109], v[94:95]
	v_fma_f64 v[108:109], s[24:25], v[70:71], v[106:107]
	v_fma_f64 v[106:107], v[70:71], s[24:25], -v[106:107]
	s_mov_b32 s53, 0x3fe9895b
	s_mov_b32 s52, s20
	v_add_f64 v[96:97], v[106:107], v[96:97]
	v_mul_f64 v[106:107], v[72:73], s[52:53]
	v_add_f64 v[98:99], v[108:109], v[98:99]
	v_fma_f64 v[108:109], s[18:19], v[70:71], v[106:107]
	v_fma_f64 v[106:107], v[70:71], s[18:19], -v[106:107]
	v_mul_f64 v[72:73], v[72:73], s[44:45]
	v_add_f64 v[100:101], v[106:107], v[100:101]
	v_fma_f64 v[106:107], s[14:15], v[70:71], v[72:73]
	v_fma_f64 v[70:71], v[70:71], s[14:15], -v[72:73]
	v_add_f64 v[72:73], v[10:11], -v[50:51]
	v_add_f64 v[104:105], v[106:107], v[104:105]
	v_add_f64 v[28:29], v[70:71], v[28:29]
	;; [unrolled: 1-line block ×3, first 2 shown]
	v_mul_f64 v[106:107], v[72:73], s[12:13]
	v_add_f64 v[102:103], v[108:109], v[102:103]
	v_fma_f64 v[108:109], s[10:11], v[70:71], v[106:107]
	v_fma_f64 v[106:107], v[70:71], s[10:11], -v[106:107]
	v_add_f64 v[74:75], v[106:107], v[74:75]
	v_mul_f64 v[106:107], v[72:73], s[48:49]
	v_add_f64 v[76:77], v[108:109], v[76:77]
	v_fma_f64 v[108:109], s[24:25], v[70:71], v[106:107]
	v_fma_f64 v[106:107], v[70:71], s[24:25], -v[106:107]
	v_add_f64 v[78:79], v[106:107], v[78:79]
	;; [unrolled: 5-line block ×4, first 2 shown]
	v_mul_f64 v[106:107], v[72:73], s[30:31]
	v_add_f64 v[88:89], v[108:109], v[88:89]
	v_fma_f64 v[108:109], s[28:29], v[70:71], v[106:107]
	v_fma_f64 v[106:107], v[70:71], s[28:29], -v[106:107]
	s_mov_b32 s51, 0x3fefdd0d
	s_mov_b32 s50, s34
	v_add_f64 v[90:91], v[106:107], v[90:91]
	v_mul_f64 v[106:107], v[72:73], s[50:51]
	v_add_f64 v[94:95], v[108:109], v[94:95]
	v_fma_f64 v[108:109], s[2:3], v[70:71], v[106:107]
	v_fma_f64 v[106:107], v[70:71], s[2:3], -v[106:107]
	v_add_f64 v[96:97], v[106:107], v[96:97]
	v_mul_f64 v[106:107], v[72:73], s[22:23]
	v_add_f64 v[98:99], v[108:109], v[98:99]
	v_fma_f64 v[108:109], s[16:17], v[70:71], v[106:107]
	v_fma_f64 v[106:107], v[70:71], s[16:17], -v[106:107]
	v_mul_f64 v[72:73], v[72:73], s[20:21]
	v_add_f64 v[100:101], v[106:107], v[100:101]
	v_fma_f64 v[106:107], s[18:19], v[70:71], v[72:73]
	v_fma_f64 v[70:71], v[70:71], s[18:19], -v[72:73]
	v_add_f64 v[72:73], v[6:7], -v[46:47]
	v_add_f64 v[104:105], v[106:107], v[104:105]
	v_add_f64 v[28:29], v[70:71], v[28:29]
	;; [unrolled: 1-line block ×3, first 2 shown]
	v_mul_f64 v[106:107], v[72:73], s[20:21]
	v_add_f64 v[102:103], v[108:109], v[102:103]
	v_fma_f64 v[108:109], s[18:19], v[70:71], v[106:107]
	v_fma_f64 v[106:107], v[70:71], s[18:19], -v[106:107]
	v_add_f64 v[74:75], v[106:107], v[74:75]
	v_mul_f64 v[106:107], v[72:73], s[46:47]
	v_add_f64 v[76:77], v[108:109], v[76:77]
	v_fma_f64 v[108:109], s[10:11], v[70:71], v[106:107]
	v_fma_f64 v[106:107], v[70:71], s[10:11], -v[106:107]
	v_add_f64 v[78:79], v[106:107], v[78:79]
	;; [unrolled: 5-line block ×6, first 2 shown]
	v_mul_f64 v[106:107], v[72:73], s[30:31]
	v_add_f64 v[98:99], v[108:109], v[98:99]
	v_fma_f64 v[108:109], s[28:29], v[70:71], v[106:107]
	v_fma_f64 v[106:107], v[70:71], s[28:29], -v[106:107]
	v_mul_f64 v[72:73], v[72:73], s[38:39]
	v_add_f64 v[100:101], v[106:107], v[100:101]
	v_fma_f64 v[106:107], s[6:7], v[70:71], v[72:73]
	v_fma_f64 v[70:71], v[70:71], s[6:7], -v[72:73]
	v_add_f64 v[72:73], v[2:3], -v[42:43]
	v_add_f64 v[104:105], v[106:107], v[104:105]
	v_add_f64 v[28:29], v[70:71], v[28:29]
	;; [unrolled: 1-line block ×3, first 2 shown]
	v_mul_f64 v[106:107], v[72:73], s[26:27]
	v_add_f64 v[102:103], v[108:109], v[102:103]
	v_fma_f64 v[108:109], s[24:25], v[70:71], v[106:107]
	v_fma_f64 v[106:107], v[70:71], s[24:25], -v[106:107]
	v_add_f64 v[74:75], v[106:107], v[74:75]
	v_mul_f64 v[106:107], v[72:73], s[38:39]
	v_add_f64 v[76:77], v[108:109], v[76:77]
	v_fma_f64 v[108:109], s[6:7], v[70:71], v[106:107]
	v_fma_f64 v[106:107], v[70:71], s[6:7], -v[106:107]
	v_add_f64 v[78:79], v[106:107], v[78:79]
	;; [unrolled: 5-line block ×4, first 2 shown]
	v_mul_f64 v[106:107], v[72:73], s[22:23]
	v_add_f64 v[88:89], v[108:109], v[88:89]
	v_fma_f64 v[108:109], s[16:17], v[70:71], v[106:107]
	v_add_f64 v[108:109], v[108:109], v[94:95]
	v_fma_f64 v[94:95], v[70:71], s[16:17], -v[106:107]
	v_add_f64 v[90:91], v[94:95], v[90:91]
	v_mul_f64 v[94:95], v[72:73], s[30:31]
	v_fma_f64 v[106:107], s[28:29], v[70:71], v[94:95]
	v_fma_f64 v[94:95], v[70:71], s[28:29], -v[94:95]
	v_add_f64 v[98:99], v[106:107], v[98:99]
	v_add_f64 v[106:107], v[94:95], v[96:97]
	v_mul_f64 v[94:95], v[72:73], s[44:45]
	v_fma_f64 v[96:97], s[14:15], v[70:71], v[94:95]
	v_fma_f64 v[94:95], v[70:71], s[14:15], -v[94:95]
	v_mul_f64 v[72:73], v[72:73], s[12:13]
	v_add_f64 v[100:101], v[94:95], v[100:101]
	v_fma_f64 v[94:95], s[10:11], v[70:71], v[72:73]
	v_fma_f64 v[70:71], v[70:71], s[10:11], -v[72:73]
	v_add_f64 v[118:119], v[14:15], -v[18:19]
	v_add_f64 v[110:111], v[70:71], v[28:29]
	v_add_f64 v[112:113], v[16:17], v[12:13]
	v_mul_f64 v[28:29], v[118:119], s[30:31]
	v_add_f64 v[68:69], v[32:33], v[68:69]
	v_fma_f64 v[70:71], s[28:29], v[112:113], v[28:29]
	v_fma_f64 v[28:29], v[112:113], s[28:29], -v[28:29]
	v_add_f64 v[68:69], v[24:25], v[68:69]
	v_add_f64 v[102:103], v[96:97], v[102:103]
	v_add_f64 v[96:97], v[28:29], v[74:75]
	v_mul_f64 v[28:29], v[118:119], s[42:43]
	v_add_f64 v[68:69], v[20:21], v[68:69]
	v_add_f64 v[120:121], v[70:71], v[76:77]
	v_fma_f64 v[70:71], s[16:17], v[112:113], v[28:29]
	v_fma_f64 v[28:29], v[112:113], s[16:17], -v[28:29]
	v_add_f64 v[68:69], v[8:9], v[68:69]
	v_add_f64 v[104:105], v[94:95], v[104:105]
	;; [unrolled: 1-line block ×3, first 2 shown]
	v_mul_f64 v[28:29], v[118:119], s[26:27]
	v_add_f64 v[68:69], v[4:5], v[68:69]
	v_add_f64 v[122:123], v[70:71], v[80:81]
	v_fma_f64 v[70:71], s[24:25], v[112:113], v[28:29]
	v_add_f64 v[68:69], v[0:1], v[68:69]
	v_add_f64 v[124:125], v[70:71], v[84:85]
	v_mul_f64 v[70:71], v[118:119], s[44:45]
	v_add_f64 v[68:69], v[12:13], v[68:69]
	v_fma_f64 v[72:73], s[14:15], v[112:113], v[70:71]
	v_add_f64 v[68:69], v[16:17], v[68:69]
	v_add_f64 v[88:89], v[72:73], v[88:89]
	v_mul_f64 v[72:73], v[118:119], s[20:21]
	v_add_f64 v[68:69], v[40:41], v[68:69]
	v_fma_f64 v[70:71], v[112:113], s[14:15], -v[70:71]
	v_fma_f64 v[74:75], s[18:19], v[112:113], v[72:73]
	v_add_f64 v[68:69], v[44:45], v[68:69]
	v_add_f64 v[70:71], v[70:71], v[86:87]
	;; [unrolled: 1-line block ×3, first 2 shown]
	v_mul_f64 v[74:75], v[118:119], s[38:39]
	v_add_f64 v[68:69], v[48:49], v[68:69]
	v_fma_f64 v[28:29], v[112:113], s[24:25], -v[28:29]
	v_fma_f64 v[76:77], s[6:7], v[112:113], v[74:75]
	v_add_f64 v[68:69], v[52:53], v[68:69]
	v_add_f64 v[28:29], v[28:29], v[82:83]
	;; [unrolled: 1-line block ×3, first 2 shown]
	v_mul_f64 v[76:77], v[118:119], s[12:13]
	v_add_f64 v[68:69], v[56:57], v[68:69]
	v_fma_f64 v[78:79], s[10:11], v[112:113], v[76:77]
	v_mul_f64 v[80:81], v[118:119], s[50:51]
	v_add_f64 v[68:69], v[60:61], v[68:69]
	v_add_f64 v[84:85], v[78:79], v[102:103]
	v_fma_f64 v[78:79], s[2:3], v[112:113], v[80:81]
	v_fma_f64 v[80:81], v[112:113], s[2:3], -v[80:81]
	s_movk_i32 s0, 0x88
	v_add_f64 v[68:69], v[64:65], v[68:69]
	v_fma_f64 v[72:73], v[112:113], s[18:19], -v[72:73]
	v_fma_f64 v[74:75], v[112:113], s[6:7], -v[74:75]
	;; [unrolled: 1-line block ×3, first 2 shown]
	v_add_f64 v[80:81], v[80:81], v[110:111]
	v_mad_u32_u24 v110, v126, s0, 0
	v_add_f64 v[72:73], v[72:73], v[90:91]
	v_add_f64 v[74:75], v[74:75], v[106:107]
	;; [unrolled: 1-line block ×4, first 2 shown]
	ds_write2_b64 v110, v[68:69], v[120:121] offset1:1
	ds_write2_b64 v110, v[122:123], v[124:125] offset0:2 offset1:3
	ds_write2_b64 v110, v[88:89], v[86:87] offset0:4 offset1:5
	;; [unrolled: 1-line block ×7, first 2 shown]
	ds_write_b64 v110, v[96:97] offset:128
	v_lshlrev_b32_e32 v28, 7, v126
	v_sub_u32_e32 v29, v110, v28
	v_add_u32_e32 v68, 0x800, v29
	v_add_u32_e32 v72, 0x1800, v29
	;; [unrolled: 1-line block ×3, first 2 shown]
	s_waitcnt lgkmcnt(0)
	s_barrier
	ds_read2_b64 v[80:83], v68 offset0:33 offset1:118
	v_add_u32_e32 v68, 0xc00, v29
	ds_read2_b64 v[88:91], v72 offset0:99 offset1:184
	v_add_u32_e32 v72, 0x2000, v29
	v_lshl_add_u32 v127, v116, 3, 0
	ds_read2_b64 v[84:87], v76 offset0:151 offset1:236
	v_add_u32_e32 v76, 0x2400, v29
	ds_read2_b64 v[68:71], v68 offset0:75 offset1:194
	ds_read2_b64 v[72:75], v72 offset0:13 offset1:132
	ds_read_b64 v[98:99], v127
	ds_read2_b64 v[76:79], v76 offset0:89 offset1:174
	v_lshl_add_u32 v128, v115, 3, 0
	ds_read_b64 v[102:103], v29
	ds_read_b64 v[100:101], v128
	v_sub_u32_e32 v28, 0, v28
	v_cmp_gt_u32_e64 s[0:1], 34, v126
	v_add_u32_e32 v129, v110, v28
	v_lshl_add_u32 v130, v114, 3, 0
                                        ; implicit-def: $vgpr104_vgpr105
                                        ; implicit-def: $vgpr106_vgpr107
                                        ; implicit-def: $vgpr108_vgpr109
	s_and_saveexec_b64 s[56:57], s[0:1]
	s_cbranch_execz .LBB0_15
; %bb.14:
	ds_read_b64 v[94:95], v130
	ds_read_b64 v[96:97], v129 offset:4352
	ds_read_b64 v[108:109], v129 offset:6664
	;; [unrolled: 1-line block ×4, first 2 shown]
.LBB0_15:
	s_or_b64 exec, exec, s[56:57]
	v_add_f64 v[28:29], v[38:39], v[30:31]
	v_add_f64 v[28:29], v[34:35], v[28:29]
	;; [unrolled: 1-line block ×14, first 2 shown]
	v_add_f64 v[36:37], v[36:37], -v[64:65]
	v_add_f64 v[28:29], v[62:63], v[28:29]
	v_add_f64 v[38:39], v[66:67], v[38:39]
	v_mul_f64 v[64:65], v[36:37], s[22:23]
	v_mul_f64 v[112:113], v[36:37], s[36:37]
	;; [unrolled: 1-line block ×8, first 2 shown]
	v_add_f64 v[28:29], v[66:67], v[28:29]
	v_fma_f64 v[66:67], v[38:39], s[16:17], -v[64:65]
	v_fmac_f64_e32 v[64:65], s[16:17], v[38:39]
	v_fma_f64 v[118:119], v[38:39], s[14:15], -v[112:113]
	v_fmac_f64_e32 v[112:113], s[14:15], v[38:39]
	;; [unrolled: 2-line block ×8, first 2 shown]
	v_add_f64 v[32:33], v[32:33], -v[60:61]
	v_add_f64 v[66:67], v[30:31], v[66:67]
	v_add_f64 v[64:65], v[30:31], v[64:65]
	;; [unrolled: 1-line block ×17, first 2 shown]
	v_mul_f64 v[36:37], v[32:33], s[36:37]
	v_fma_f64 v[38:39], v[34:35], s[14:15], -v[36:37]
	v_fmac_f64_e32 v[36:37], s[14:15], v[34:35]
	v_mul_f64 v[60:61], v[32:33], s[34:35]
	v_add_f64 v[36:37], v[36:37], v[64:65]
	v_fma_f64 v[62:63], v[34:35], s[2:3], -v[60:61]
	v_fmac_f64_e32 v[60:61], s[2:3], v[34:35]
	v_mul_f64 v[64:65], v[32:33], s[20:21]
	v_add_f64 v[38:39], v[38:39], v[66:67]
	v_add_f64 v[60:61], v[60:61], v[112:113]
	v_fma_f64 v[66:67], v[34:35], s[18:19], -v[64:65]
	v_fmac_f64_e32 v[64:65], s[18:19], v[34:35]
	v_mul_f64 v[112:113], v[32:33], s[30:31]
	v_add_f64 v[62:63], v[62:63], v[118:119]
	;; [unrolled: 5-line block ×4, first 2 shown]
	v_add_f64 v[120:121], v[120:121], v[134:135]
	v_fma_f64 v[132:133], v[34:35], s[10:11], -v[124:125]
	v_fmac_f64_e32 v[124:125], s[10:11], v[34:35]
	v_mul_f64 v[134:135], v[32:33], s[38:39]
	v_mul_f64 v[32:33], v[32:33], s[42:43]
	v_add_f64 v[124:125], v[124:125], v[138:139]
	v_fma_f64 v[138:139], v[34:35], s[16:17], -v[32:33]
	v_fmac_f64_e32 v[32:33], s[16:17], v[34:35]
	v_add_f64 v[24:25], v[24:25], -v[56:57]
	v_add_f64 v[30:31], v[32:33], v[30:31]
	v_add_f64 v[26:27], v[58:59], v[26:27]
	v_mul_f64 v[32:33], v[24:25], s[40:41]
	v_add_f64 v[122:123], v[122:123], v[136:137]
	v_fma_f64 v[136:137], v[34:35], s[6:7], -v[134:135]
	v_fmac_f64_e32 v[134:135], s[6:7], v[34:35]
	v_fma_f64 v[34:35], v[26:27], s[6:7], -v[32:33]
	v_fmac_f64_e32 v[32:33], s[6:7], v[26:27]
	v_add_f64 v[32:33], v[32:33], v[36:37]
	v_mul_f64 v[36:37], v[24:25], s[20:21]
	v_add_f64 v[34:35], v[34:35], v[38:39]
	v_fma_f64 v[38:39], v[26:27], s[18:19], -v[36:37]
	v_fmac_f64_e32 v[36:37], s[18:19], v[26:27]
	v_mul_f64 v[56:57], v[24:25], s[54:55]
	v_add_f64 v[36:37], v[36:37], v[60:61]
	v_fma_f64 v[58:59], v[26:27], s[28:29], -v[56:57]
	v_fmac_f64_e32 v[56:57], s[28:29], v[26:27]
	v_mul_f64 v[60:61], v[24:25], s[46:47]
	v_add_f64 v[38:39], v[38:39], v[62:63]
	v_add_f64 v[56:57], v[56:57], v[64:65]
	v_fma_f64 v[62:63], v[26:27], s[10:11], -v[60:61]
	v_fmac_f64_e32 v[60:61], s[10:11], v[26:27]
	v_mul_f64 v[64:65], v[24:25], s[44:45]
	v_add_f64 v[58:59], v[58:59], v[66:67]
	;; [unrolled: 5-line block ×3, first 2 shown]
	v_add_f64 v[64:65], v[64:65], v[120:121]
	v_fma_f64 v[118:119], v[26:27], s[16:17], -v[112:113]
	v_fmac_f64_e32 v[112:113], s[16:17], v[26:27]
	v_mul_f64 v[120:121], v[24:25], s[34:35]
	v_mul_f64 v[24:25], v[24:25], s[26:27]
	v_add_f64 v[20:21], v[20:21], -v[52:53]
	v_add_f64 v[66:67], v[66:67], v[122:123]
	v_add_f64 v[112:113], v[112:113], v[124:125]
	v_fma_f64 v[122:123], v[26:27], s[2:3], -v[120:121]
	v_fmac_f64_e32 v[120:121], s[2:3], v[26:27]
	v_fma_f64 v[124:125], v[26:27], s[24:25], -v[24:25]
	v_fmac_f64_e32 v[24:25], s[24:25], v[26:27]
	v_add_f64 v[22:23], v[54:55], v[22:23]
	v_mul_f64 v[26:27], v[20:21], s[34:35]
	v_add_f64 v[24:25], v[24:25], v[30:31]
	v_fma_f64 v[30:31], v[22:23], s[2:3], -v[26:27]
	v_fmac_f64_e32 v[26:27], s[2:3], v[22:23]
	v_add_f64 v[26:27], v[26:27], v[32:33]
	v_mul_f64 v[32:33], v[20:21], s[30:31]
	v_add_f64 v[30:31], v[30:31], v[34:35]
	;; [unrolled: 5-line block ×3, first 2 shown]
	v_fma_f64 v[38:39], v[22:23], s[10:11], -v[36:37]
	v_fmac_f64_e32 v[36:37], s[10:11], v[22:23]
	v_mul_f64 v[52:53], v[20:21], s[42:43]
	v_add_f64 v[36:37], v[36:37], v[56:57]
	v_fma_f64 v[54:55], v[22:23], s[16:17], -v[52:53]
	v_fmac_f64_e32 v[52:53], s[16:17], v[22:23]
	v_mul_f64 v[56:57], v[20:21], s[40:41]
	v_add_f64 v[38:39], v[38:39], v[58:59]
	v_add_f64 v[52:53], v[52:53], v[60:61]
	v_fma_f64 v[58:59], v[22:23], s[6:7], -v[56:57]
	v_fmac_f64_e32 v[56:57], s[6:7], v[22:23]
	v_mul_f64 v[60:61], v[20:21], s[26:27]
	v_add_f64 v[54:55], v[54:55], v[62:63]
	v_add_f64 v[56:57], v[56:57], v[64:65]
	v_fma_f64 v[62:63], v[22:23], s[24:25], -v[60:61]
	v_fmac_f64_e32 v[60:61], s[24:25], v[22:23]
	v_mul_f64 v[64:65], v[20:21], s[52:53]
	v_mul_f64 v[20:21], v[20:21], s[44:45]
	v_add_f64 v[8:9], v[8:9], -v[48:49]
	v_add_f64 v[58:59], v[58:59], v[66:67]
	v_add_f64 v[60:61], v[60:61], v[112:113]
	v_fma_f64 v[66:67], v[22:23], s[18:19], -v[64:65]
	v_fmac_f64_e32 v[64:65], s[18:19], v[22:23]
	v_fma_f64 v[112:113], v[22:23], s[14:15], -v[20:21]
	v_fmac_f64_e32 v[20:21], s[14:15], v[22:23]
	v_add_f64 v[10:11], v[50:51], v[10:11]
	v_mul_f64 v[22:23], v[8:9], s[12:13]
	v_add_f64 v[20:21], v[20:21], v[24:25]
	v_fma_f64 v[24:25], v[10:11], s[10:11], -v[22:23]
	v_fmac_f64_e32 v[22:23], s[10:11], v[10:11]
	v_add_f64 v[22:23], v[22:23], v[26:27]
	v_mul_f64 v[26:27], v[8:9], s[48:49]
	v_add_f64 v[24:25], v[24:25], v[30:31]
	;; [unrolled: 5-line block ×4, first 2 shown]
	v_fma_f64 v[38:39], v[10:11], s[6:7], -v[36:37]
	v_fmac_f64_e32 v[36:37], s[6:7], v[10:11]
	v_mul_f64 v[48:49], v[8:9], s[30:31]
	v_add_f64 v[36:37], v[36:37], v[52:53]
	v_fma_f64 v[50:51], v[10:11], s[28:29], -v[48:49]
	v_fmac_f64_e32 v[48:49], s[28:29], v[10:11]
	v_mul_f64 v[52:53], v[8:9], s[50:51]
	v_add_f64 v[38:39], v[38:39], v[54:55]
	v_add_f64 v[48:49], v[48:49], v[56:57]
	v_fma_f64 v[54:55], v[10:11], s[2:3], -v[52:53]
	v_fmac_f64_e32 v[52:53], s[2:3], v[10:11]
	v_mul_f64 v[56:57], v[8:9], s[22:23]
	v_mul_f64 v[8:9], v[8:9], s[20:21]
	v_add_f64 v[4:5], v[4:5], -v[44:45]
	v_add_f64 v[50:51], v[50:51], v[58:59]
	v_add_f64 v[52:53], v[52:53], v[60:61]
	v_fma_f64 v[58:59], v[10:11], s[16:17], -v[56:57]
	v_fmac_f64_e32 v[56:57], s[16:17], v[10:11]
	v_fma_f64 v[60:61], v[10:11], s[18:19], -v[8:9]
	v_fmac_f64_e32 v[8:9], s[18:19], v[10:11]
	v_add_f64 v[6:7], v[46:47], v[6:7]
	v_mul_f64 v[10:11], v[4:5], s[20:21]
	v_add_f64 v[8:9], v[8:9], v[20:21]
	v_fma_f64 v[20:21], v[6:7], s[18:19], -v[10:11]
	v_fmac_f64_e32 v[10:11], s[18:19], v[6:7]
	v_add_f64 v[10:11], v[10:11], v[22:23]
	v_mul_f64 v[22:23], v[4:5], s[46:47]
	v_add_f64 v[20:21], v[20:21], v[24:25]
	;; [unrolled: 5-line block ×5, first 2 shown]
	v_fma_f64 v[38:39], v[6:7], s[2:3], -v[36:37]
	v_fmac_f64_e32 v[36:37], s[2:3], v[6:7]
	v_mul_f64 v[44:45], v[4:5], s[36:37]
	v_add_f64 v[36:37], v[36:37], v[48:49]
	v_fma_f64 v[46:47], v[6:7], s[14:15], -v[44:45]
	v_fmac_f64_e32 v[44:45], s[14:15], v[6:7]
	v_mul_f64 v[48:49], v[4:5], s[30:31]
	v_mul_f64 v[4:5], v[4:5], s[38:39]
	v_add_f64 v[0:1], v[0:1], -v[40:41]
	v_add_f64 v[38:39], v[38:39], v[50:51]
	v_add_f64 v[44:45], v[44:45], v[52:53]
	v_fma_f64 v[50:51], v[6:7], s[28:29], -v[48:49]
	v_fmac_f64_e32 v[48:49], s[28:29], v[6:7]
	v_fma_f64 v[52:53], v[6:7], s[6:7], -v[4:5]
	v_fmac_f64_e32 v[4:5], s[6:7], v[6:7]
	v_add_f64 v[2:3], v[42:43], v[2:3]
	v_mul_f64 v[6:7], v[0:1], s[26:27]
	v_add_f64 v[4:5], v[4:5], v[8:9]
	v_fma_f64 v[8:9], v[2:3], s[24:25], -v[6:7]
	v_fmac_f64_e32 v[6:7], s[24:25], v[2:3]
	v_add_f64 v[6:7], v[6:7], v[10:11]
	v_mul_f64 v[10:11], v[0:1], s[38:39]
	v_add_f64 v[8:9], v[8:9], v[20:21]
	;; [unrolled: 5-line block ×6, first 2 shown]
	v_fma_f64 v[38:39], v[2:3], s[28:29], -v[36:37]
	v_fmac_f64_e32 v[36:37], s[28:29], v[2:3]
	v_mul_f64 v[40:41], v[0:1], s[44:45]
	v_mul_f64 v[0:1], v[0:1], s[12:13]
	v_add_f64 v[134:135], v[134:135], v[142:143]
	v_add_f64 v[36:37], v[36:37], v[44:45]
	v_fma_f64 v[44:45], v[2:3], s[10:11], -v[0:1]
	v_fmac_f64_e32 v[0:1], s[10:11], v[2:3]
	v_add_f64 v[120:121], v[120:121], v[134:135]
	v_add_f64 v[0:1], v[0:1], v[4:5]
	v_add_f64 v[4:5], v[12:13], -v[16:17]
	v_add_f64 v[136:137], v[136:137], v[144:145]
	v_add_f64 v[64:65], v[64:65], v[120:121]
	v_fma_f64 v[42:43], v[2:3], s[14:15], -v[40:41]
	v_fmac_f64_e32 v[40:41], s[14:15], v[2:3]
	v_add_f64 v[2:3], v[18:19], v[14:15]
	v_mul_f64 v[12:13], v[4:5], s[30:31]
	v_add_f64 v[122:123], v[122:123], v[136:137]
	v_add_f64 v[56:57], v[56:57], v[64:65]
	v_fma_f64 v[14:15], v[2:3], s[28:29], -v[12:13]
	v_fmac_f64_e32 v[12:13], s[28:29], v[2:3]
	v_add_f64 v[66:67], v[66:67], v[122:123]
	v_add_f64 v[48:49], v[48:49], v[56:57]
	;; [unrolled: 1-line block ×3, first 2 shown]
	v_mul_f64 v[6:7], v[4:5], s[42:43]
	v_add_f64 v[132:133], v[132:133], v[140:141]
	v_add_f64 v[138:139], v[138:139], v[146:147]
	;; [unrolled: 1-line block ×3, first 2 shown]
	v_fma_f64 v[12:13], v[2:3], s[16:17], -v[6:7]
	v_fmac_f64_e32 v[6:7], s[16:17], v[2:3]
	v_add_f64 v[118:119], v[118:119], v[132:133]
	v_add_f64 v[124:125], v[124:125], v[138:139]
	;; [unrolled: 1-line block ×5, first 2 shown]
	v_mul_f64 v[6:7], v[4:5], s[26:27]
	v_mul_f64 v[14:15], v[4:5], s[44:45]
	v_add_f64 v[62:63], v[62:63], v[118:119]
	v_add_f64 v[112:113], v[112:113], v[124:125]
	v_fma_f64 v[10:11], v[2:3], s[24:25], -v[6:7]
	v_fmac_f64_e32 v[6:7], s[24:25], v[2:3]
	v_fma_f64 v[16:17], v[2:3], s[14:15], -v[14:15]
	v_fmac_f64_e32 v[14:15], s[14:15], v[2:3]
	v_mul_f64 v[18:19], v[4:5], s[20:21]
	v_add_f64 v[54:55], v[54:55], v[62:63]
	v_add_f64 v[60:61], v[60:61], v[112:113]
	;; [unrolled: 1-line block ×5, first 2 shown]
	v_fma_f64 v[20:21], v[2:3], s[18:19], -v[18:19]
	v_fmac_f64_e32 v[18:19], s[18:19], v[2:3]
	v_mul_f64 v[22:23], v[4:5], s[38:39]
	v_mul_f64 v[26:27], v[4:5], s[12:13]
	;; [unrolled: 1-line block ×3, first 2 shown]
	v_add_f64 v[46:47], v[46:47], v[54:55]
	v_add_f64 v[52:53], v[52:53], v[60:61]
	;; [unrolled: 1-line block ×3, first 2 shown]
	v_fma_f64 v[32:33], v[2:3], s[2:3], -v[4:5]
	v_fmac_f64_e32 v[4:5], s[2:3], v[2:3]
	v_add_f64 v[38:39], v[38:39], v[46:47]
	v_add_f64 v[42:43], v[42:43], v[50:51]
	;; [unrolled: 1-line block ×6, first 2 shown]
	v_fma_f64 v[24:25], v[2:3], s[6:7], -v[22:23]
	v_fmac_f64_e32 v[22:23], s[6:7], v[2:3]
	v_fma_f64 v[30:31], v[2:3], s[10:11], -v[26:27]
	v_fmac_f64_e32 v[26:27], s[10:11], v[2:3]
	v_add_f64 v[0:1], v[4:5], v[0:1]
	v_add_f64 v[20:21], v[20:21], v[34:35]
	v_add_f64 v[24:25], v[24:25], v[38:39]
	v_add_f64 v[22:23], v[22:23], v[36:37]
	v_add_f64 v[30:31], v[30:31], v[42:43]
	v_add_f64 v[26:27], v[26:27], v[40:41]
	v_add_f64 v[32:33], v[32:33], v[44:45]
	s_waitcnt lgkmcnt(0)
	s_barrier
	ds_write2_b64 v110, v[28:29], v[8:9] offset1:1
	ds_write2_b64 v110, v[12:13], v[10:11] offset0:2 offset1:3
	ds_write2_b64 v110, v[16:17], v[20:21] offset0:4 offset1:5
	ds_write2_b64 v110, v[24:25], v[30:31] offset0:6 offset1:7
	ds_write2_b64 v110, v[32:33], v[0:1] offset0:8 offset1:9
	ds_write2_b64 v110, v[26:27], v[22:23] offset0:10 offset1:11
	ds_write2_b64 v110, v[18:19], v[14:15] offset0:12 offset1:13
	ds_write2_b64 v110, v[6:7], v[58:59] offset0:14 offset1:15
	ds_write_b64 v110, v[56:57] offset:128
	v_add_u32_e32 v0, 0x800, v129
	v_add_u32_e32 v4, 0x1800, v129
	s_waitcnt lgkmcnt(0)
	s_barrier
	ds_read2_b64 v[16:19], v0 offset0:33 offset1:118
	v_add_u32_e32 v0, 0xc00, v129
	ds_read2_b64 v[20:23], v4 offset0:99 offset1:184
	v_add_u32_e32 v4, 0x2000, v129
	v_add_u32_e32 v8, 0x1000, v129
	ds_read2_b64 v[0:3], v0 offset0:75 offset1:194
	ds_read2_b64 v[4:7], v4 offset0:13 offset1:132
	ds_read_b64 v[60:61], v127
	ds_read2_b64 v[12:15], v8 offset0:151 offset1:236
	v_add_u32_e32 v8, 0x2400, v129
	ds_read2_b64 v[8:11], v8 offset0:89 offset1:174
	ds_read_b64 v[64:65], v129
	ds_read_b64 v[62:63], v128
                                        ; implicit-def: $vgpr66_vgpr67
                                        ; implicit-def: $vgpr110_vgpr111
                                        ; implicit-def: $vgpr112_vgpr113
	s_and_saveexec_b64 s[2:3], s[0:1]
	s_cbranch_execz .LBB0_17
; %bb.16:
	ds_read_b64 v[58:59], v130
	ds_read_b64 v[56:57], v129 offset:4352
	ds_read_b64 v[112:113], v129 offset:6664
	ds_read_b64 v[110:111], v129 offset:8976
	ds_read_b64 v[66:67], v129 offset:11288
.LBB0_17:
	s_or_b64 exec, exec, s[2:3]
	s_movk_i32 s2, 0xf1
	v_mul_lo_u16_sdwa v24, v126, s2 dst_sel:DWORD dst_unused:UNUSED_PAD src0_sel:BYTE_0 src1_sel:DWORD
	v_lshrrev_b16_e32 v132, 12, v24
	v_mul_lo_u16_e32 v24, 17, v132
	v_sub_u16_e32 v133, v126, v24
	v_mov_b32_e32 v117, 6
	v_lshlrev_b32_sdwa v40, v117, v133 dst_sel:DWORD dst_unused:UNUSED_PAD src0_sel:DWORD src1_sel:BYTE_0
	global_load_dwordx4 v[24:27], v40, s[4:5] offset:48
	global_load_dwordx4 v[28:31], v40, s[4:5] offset:32
	;; [unrolled: 1-line block ×3, first 2 shown]
	global_load_dwordx4 v[36:39], v40, s[4:5]
	v_mul_lo_u16_sdwa v40, v116, s2 dst_sel:DWORD dst_unused:UNUSED_PAD src0_sel:BYTE_0 src1_sel:DWORD
	v_lshrrev_b16_e32 v180, 12, v40
	v_mul_lo_u16_e32 v40, 17, v180
	v_sub_u16_e32 v181, v116, v40
	v_lshlrev_b32_sdwa v116, v117, v181 dst_sel:DWORD dst_unused:UNUSED_PAD src0_sel:DWORD src1_sel:BYTE_0
	global_load_dwordx4 v[40:43], v116, s[4:5] offset:48
	global_load_dwordx4 v[44:47], v116, s[4:5] offset:32
	global_load_dwordx4 v[48:51], v116, s[4:5] offset:16
	global_load_dwordx4 v[52:55], v116, s[4:5]
	v_mul_lo_u16_sdwa v116, v115, s2 dst_sel:DWORD dst_unused:UNUSED_PAD src0_sel:BYTE_0 src1_sel:DWORD
	v_lshrrev_b16_e32 v182, 12, v116
	v_mul_lo_u16_e32 v116, 17, v182
	v_sub_u16_e32 v183, v115, v116
	v_lshlrev_b32_sdwa v115, v117, v183 dst_sel:DWORD dst_unused:UNUSED_PAD src0_sel:DWORD src1_sel:BYTE_0
	s_mov_b32 s2, 0xf0f1
	global_load_dwordx4 v[134:137], v115, s[4:5] offset:16
	global_load_dwordx4 v[138:141], v115, s[4:5]
	global_load_dwordx4 v[142:145], v115, s[4:5] offset:48
	global_load_dwordx4 v[146:149], v115, s[4:5] offset:32
	v_mul_u32_u24_sdwa v115, v114, s2 dst_sel:DWORD dst_unused:UNUSED_PAD src0_sel:WORD_0 src1_sel:DWORD
	v_lshrrev_b32_e32 v131, 20, v115
	v_mul_lo_u16_e32 v115, 17, v131
	v_sub_u16_e32 v184, v114, v115
	v_lshlrev_b32_e32 v114, 6, v184
	global_load_dwordx4 v[150:153], v114, s[4:5]
	global_load_dwordx4 v[154:157], v114, s[4:5] offset:16
	global_load_dwordx4 v[158:161], v114, s[4:5] offset:32
	;; [unrolled: 1-line block ×3, first 2 shown]
	s_mov_b32 s6, 0x134454ff
	s_mov_b32 s7, 0xbfee6f0e
	;; [unrolled: 1-line block ×10, first 2 shown]
	s_waitcnt lgkmcnt(0)
	s_barrier
	s_waitcnt vmcnt(15)
	v_mul_f64 v[124:125], v[6:7], v[26:27]
	v_mul_f64 v[170:171], v[74:75], v[26:27]
	s_waitcnt vmcnt(13)
	v_mul_f64 v[120:121], v[2:3], v[34:35]
	v_mul_f64 v[122:123], v[20:21], v[30:31]
	v_fmac_f64_e32 v[124:125], v[74:75], v[24:25]
	v_fma_f64 v[74:75], v[6:7], v[24:25], -v[170:171]
	s_waitcnt vmcnt(12)
	v_mul_f64 v[118:119], v[16:17], v[38:39]
	s_waitcnt vmcnt(10)
	v_mul_f64 v[176:177], v[90:91], v[46:47]
	;; [unrolled: 2-line block ×4, first 2 shown]
	v_mul_f64 v[172:173], v[82:83], v[54:55]
	v_mul_f64 v[54:55], v[12:13], v[50:51]
	;; [unrolled: 1-line block ×5, first 2 shown]
	s_waitcnt vmcnt(5)
	v_mul_f64 v[46:47], v[10:11], v[144:145]
	v_mul_f64 v[144:145], v[78:79], v[144:145]
	v_fma_f64 v[6:7], v[10:11], v[142:143], -v[144:145]
	v_mul_f64 v[30:31], v[88:89], v[30:31]
	s_waitcnt vmcnt(3)
	v_mul_f64 v[10:11], v[96:97], v[152:153]
	v_mul_f64 v[38:39], v[14:15], v[136:137]
	;; [unrolled: 1-line block ×3, first 2 shown]
	v_fmac_f64_e32 v[120:121], v[70:71], v[32:33]
	v_fmac_f64_e32 v[122:123], v[88:89], v[28:29]
	v_fma_f64 v[24:25], v[56:57], v[150:151], -v[10:11]
	s_waitcnt vmcnt(2)
	v_mul_f64 v[10:11], v[108:109], v[156:157]
	v_fmac_f64_e32 v[118:119], v[80:81], v[36:37]
	v_fma_f64 v[80:81], v[16:17], v[36:37], -v[166:167]
	v_fma_f64 v[70:71], v[2:3], v[32:33], -v[168:169]
	;; [unrolled: 1-line block ×5, first 2 shown]
	s_waitcnt vmcnt(1)
	v_mul_f64 v[10:11], v[106:107], v[160:161]
	v_add_f64 v[14:15], v[120:121], v[122:123]
	v_fma_f64 v[16:17], v[18:19], v[52:53], -v[172:173]
	v_fma_f64 v[18:19], v[22:23], v[44:45], -v[176:177]
	;; [unrolled: 1-line block ×3, first 2 shown]
	s_waitcnt vmcnt(0)
	v_mul_f64 v[10:11], v[104:105], v[164:165]
	v_fma_f64 v[14:15], -0.5, v[14:15], v[102:103]
	v_add_f64 v[22:23], v[80:81], -v[74:75]
	v_mul_f64 v[26:27], v[56:57], v[152:153]
	v_fmac_f64_e32 v[114:115], v[82:83], v[52:53]
	v_fmac_f64_e32 v[54:55], v[84:85], v[48:49]
	v_fma_f64 v[12:13], v[12:13], v[48:49], -v[174:175]
	v_fmac_f64_e32 v[50:51], v[90:91], v[44:45]
	v_mul_f64 v[44:45], v[66:67], v[164:165]
	v_fma_f64 v[32:33], v[66:67], v[162:163], -v[10:11]
	v_fma_f64 v[52:53], s[6:7], v[22:23], v[14:15]
	v_add_f64 v[48:49], v[70:71], -v[20:21]
	v_add_f64 v[56:57], v[118:119], -v[120:121]
	;; [unrolled: 1-line block ×3, first 2 shown]
	v_fmac_f64_e32 v[14:15], s[12:13], v[22:23]
	v_fmac_f64_e32 v[52:53], s[2:3], v[48:49]
	v_add_f64 v[56:57], v[56:57], v[66:67]
	v_fmac_f64_e32 v[14:15], s[14:15], v[48:49]
	v_fmac_f64_e32 v[52:53], s[10:11], v[56:57]
	;; [unrolled: 1-line block ×3, first 2 shown]
	v_add_f64 v[56:57], v[118:119], v[124:125]
	v_mul_f64 v[34:35], v[0:1], v[140:141]
	v_add_f64 v[10:11], v[102:103], v[118:119]
	v_fmac_f64_e32 v[102:103], -0.5, v[56:57]
	v_mul_f64 v[178:179], v[76:77], v[42:43]
	v_mul_f64 v[140:141], v[68:69], v[140:141]
	v_fmac_f64_e32 v[34:35], v[68:69], v[138:139]
	v_fma_f64 v[56:57], s[12:13], v[48:49], v[102:103]
	v_add_f64 v[66:67], v[120:121], -v[118:119]
	v_add_f64 v[68:69], v[122:123], -v[124:125]
	v_fmac_f64_e32 v[102:103], s[6:7], v[48:49]
	v_mul_f64 v[116:117], v[8:9], v[42:43]
	v_fma_f64 v[8:9], v[8:9], v[40:41], -v[178:179]
	v_fmac_f64_e32 v[56:57], s[2:3], v[22:23]
	v_add_f64 v[66:67], v[66:67], v[68:69]
	v_fmac_f64_e32 v[102:103], s[14:15], v[22:23]
	v_add_f64 v[48:49], v[54:55], v[50:51]
	v_mul_f64 v[42:43], v[4:5], v[148:149]
	v_fmac_f64_e32 v[116:117], v[76:77], v[40:41]
	v_fmac_f64_e32 v[56:57], s[10:11], v[66:67]
	;; [unrolled: 1-line block ×3, first 2 shown]
	v_fma_f64 v[66:67], -0.5, v[48:49], v[98:99]
	v_add_f64 v[48:49], v[16:17], -v[8:9]
	v_mul_f64 v[148:149], v[72:73], v[148:149]
	v_fmac_f64_e32 v[42:43], v[72:73], v[146:147]
	v_fmac_f64_e32 v[46:47], v[78:79], v[142:143]
	v_fma_f64 v[68:69], s[6:7], v[48:49], v[66:67]
	v_add_f64 v[72:73], v[12:13], -v[18:19]
	v_add_f64 v[76:77], v[114:115], -v[54:55]
	;; [unrolled: 1-line block ×3, first 2 shown]
	v_fmac_f64_e32 v[66:67], s[12:13], v[48:49]
	v_fmac_f64_e32 v[68:69], s[2:3], v[72:73]
	v_add_f64 v[76:77], v[76:77], v[78:79]
	v_fmac_f64_e32 v[66:67], s[14:15], v[72:73]
	v_fmac_f64_e32 v[68:69], s[10:11], v[76:77]
	;; [unrolled: 1-line block ×3, first 2 shown]
	v_add_f64 v[76:77], v[114:115], v[116:117]
	v_add_f64 v[22:23], v[98:99], v[114:115]
	v_fmac_f64_e32 v[98:99], -0.5, v[76:77]
	v_fma_f64 v[76:77], s[12:13], v[72:73], v[98:99]
	v_fmac_f64_e32 v[98:99], s[6:7], v[72:73]
	v_fmac_f64_e32 v[38:39], v[86:87], v[134:135]
	;; [unrolled: 1-line block ×4, first 2 shown]
	v_add_f64 v[48:49], v[100:101], v[34:35]
	v_add_f64 v[48:49], v[48:49], v[38:39]
	v_add_f64 v[78:79], v[54:55], -v[114:115]
	v_add_f64 v[82:83], v[50:51], -v[116:117]
	v_add_f64 v[48:49], v[48:49], v[42:43]
	v_fma_f64 v[0:1], v[0:1], v[138:139], -v[140:141]
	v_add_f64 v[78:79], v[78:79], v[82:83]
	v_add_f64 v[72:73], v[48:49], v[46:47]
	;; [unrolled: 1-line block ×3, first 2 shown]
	v_fma_f64 v[4:5], v[4:5], v[146:147], -v[148:149]
	v_fmac_f64_e32 v[76:77], s[10:11], v[78:79]
	v_fmac_f64_e32 v[98:99], s[10:11], v[78:79]
	v_fma_f64 v[78:79], -0.5, v[48:49], v[100:101]
	v_add_f64 v[48:49], v[0:1], -v[6:7]
	v_fma_f64 v[82:83], s[6:7], v[48:49], v[78:79]
	v_add_f64 v[84:85], v[2:3], -v[4:5]
	v_add_f64 v[86:87], v[34:35], -v[38:39]
	;; [unrolled: 1-line block ×3, first 2 shown]
	v_fmac_f64_e32 v[78:79], s[12:13], v[48:49]
	v_fmac_f64_e32 v[82:83], s[2:3], v[84:85]
	v_add_f64 v[86:87], v[86:87], v[88:89]
	v_fmac_f64_e32 v[78:79], s[14:15], v[84:85]
	v_fmac_f64_e32 v[82:83], s[10:11], v[86:87]
	;; [unrolled: 1-line block ×3, first 2 shown]
	v_add_f64 v[86:87], v[34:35], v[46:47]
	v_fmac_f64_e32 v[100:101], -0.5, v[86:87]
	v_add_f64 v[10:11], v[10:11], v[120:121]
	v_fma_f64 v[86:87], s[12:13], v[84:85], v[100:101]
	v_fmac_f64_e32 v[100:101], s[6:7], v[84:85]
	v_mov_b32_e32 v84, 3
	v_add_f64 v[10:11], v[10:11], v[122:123]
	v_fmac_f64_e32 v[86:87], s[2:3], v[48:49]
	v_fmac_f64_e32 v[100:101], s[14:15], v[48:49]
	v_mul_u32_u24_e32 v48, 0x2a8, v132
	v_lshlrev_b32_sdwa v49, v84, v133 dst_sel:DWORD dst_unused:UNUSED_PAD src0_sel:DWORD src1_sel:BYTE_0
	v_add_f64 v[10:11], v[10:11], v[124:125]
	v_add3_u32 v49, 0, v48, v49
	v_add_f64 v[22:23], v[22:23], v[54:55]
	ds_write2_b64 v49, v[10:11], v[52:53] offset1:17
	ds_write2_b64 v49, v[56:57], v[102:103] offset0:34 offset1:51
	ds_write_b64 v49, v[14:15] offset:544
	v_mul_u32_u24_e32 v10, 0x2a8, v180
	v_lshlrev_b32_sdwa v11, v84, v181 dst_sel:DWORD dst_unused:UNUSED_PAD src0_sel:DWORD src1_sel:BYTE_0
	v_mul_f64 v[36:37], v[112:113], v[156:157]
	v_mul_f64 v[40:41], v[110:111], v[160:161]
	v_add_f64 v[22:23], v[22:23], v[50:51]
	v_add_f64 v[88:89], v[38:39], -v[34:35]
	v_add_f64 v[90:91], v[42:43], -v[46:47]
	v_add3_u32 v52, 0, v10, v11
	v_mul_u32_u24_e32 v10, 0x2a8, v182
	v_lshlrev_b32_sdwa v11, v84, v183 dst_sel:DWORD dst_unused:UNUSED_PAD src0_sel:DWORD src1_sel:BYTE_0
	v_fmac_f64_e32 v[26:27], v[96:97], v[150:151]
	v_fmac_f64_e32 v[36:37], v[108:109], v[154:155]
	;; [unrolled: 1-line block ×4, first 2 shown]
	v_add_f64 v[22:23], v[22:23], v[116:117]
	v_add_f64 v[88:89], v[88:89], v[90:91]
	v_add3_u32 v53, 0, v10, v11
	v_lshlrev_b32_e32 v48, 3, v184
	v_fmac_f64_e32 v[86:87], s[10:11], v[88:89]
	v_fmac_f64_e32 v[100:101], s[10:11], v[88:89]
	ds_write2_b64 v52, v[22:23], v[68:69] offset1:17
	ds_write2_b64 v52, v[76:77], v[98:99] offset0:34 offset1:51
	ds_write_b64 v52, v[66:67] offset:544
	ds_write2_b64 v53, v[72:73], v[82:83] offset1:17
	ds_write2_b64 v53, v[86:87], v[100:101] offset0:34 offset1:51
	ds_write_b64 v53, v[78:79] offset:544
	s_and_saveexec_b64 s[16:17], s[0:1]
	s_cbranch_execz .LBB0_19
; %bb.18:
	v_add_f64 v[22:23], v[26:27], v[44:45]
	v_add_f64 v[10:11], v[36:37], -v[26:27]
	v_add_f64 v[14:15], v[40:41], -v[44:45]
	v_fma_f64 v[22:23], -0.5, v[22:23], v[94:95]
	v_add_f64 v[56:57], v[28:29], -v[30:31]
	v_add_f64 v[10:11], v[10:11], v[14:15]
	v_add_f64 v[14:15], v[24:25], -v[32:33]
	v_fma_f64 v[66:67], s[6:7], v[56:57], v[22:23]
	v_fmac_f64_e32 v[22:23], s[12:13], v[56:57]
	v_fmac_f64_e32 v[66:67], s[14:15], v[14:15]
	;; [unrolled: 1-line block ×5, first 2 shown]
	v_add_f64 v[10:11], v[26:27], -v[36:37]
	v_add_f64 v[68:69], v[44:45], -v[40:41]
	v_add_f64 v[10:11], v[10:11], v[68:69]
	v_add_f64 v[68:69], v[36:37], v[40:41]
	v_fma_f64 v[68:69], -0.5, v[68:69], v[94:95]
	v_fma_f64 v[72:73], s[12:13], v[14:15], v[68:69]
	v_fmac_f64_e32 v[68:69], s[6:7], v[14:15]
	v_fmac_f64_e32 v[72:73], s[14:15], v[56:57]
	;; [unrolled: 1-line block ×5, first 2 shown]
	v_add_f64 v[10:11], v[94:95], v[26:27]
	v_add_f64 v[10:11], v[10:11], v[36:37]
	v_mul_lo_u16_e32 v14, 0x55, v131
	v_add_f64 v[10:11], v[10:11], v[40:41]
	v_lshlrev_b32_e32 v14, 3, v14
	v_add_f64 v[10:11], v[10:11], v[44:45]
	v_add3_u32 v14, 0, v48, v14
	ds_write2_b64 v14, v[10:11], v[68:69] offset1:17
	ds_write2_b64 v14, v[22:23], v[66:67] offset0:34 offset1:51
	ds_write_b64 v14, v[72:73] offset:544
.LBB0_19:
	s_or_b64 exec, exec, s[16:17]
	v_add_f64 v[10:11], v[64:65], v[80:81]
	v_add_f64 v[10:11], v[10:11], v[70:71]
	;; [unrolled: 1-line block ×5, first 2 shown]
	v_fma_f64 v[68:69], -0.5, v[10:11], v[64:65]
	v_add_f64 v[10:11], v[118:119], -v[124:125]
	v_fma_f64 v[72:73], s[12:13], v[10:11], v[68:69]
	v_add_f64 v[14:15], v[120:121], -v[122:123]
	v_add_f64 v[22:23], v[80:81], -v[70:71]
	;; [unrolled: 1-line block ×3, first 2 shown]
	v_fmac_f64_e32 v[68:69], s[6:7], v[10:11]
	v_fmac_f64_e32 v[72:73], s[14:15], v[14:15]
	v_add_f64 v[22:23], v[22:23], v[56:57]
	v_fmac_f64_e32 v[68:69], s[2:3], v[14:15]
	v_fmac_f64_e32 v[72:73], s[10:11], v[22:23]
	v_fmac_f64_e32 v[68:69], s[10:11], v[22:23]
	v_add_f64 v[22:23], v[80:81], v[74:75]
	v_fmac_f64_e32 v[64:65], -0.5, v[22:23]
	v_fma_f64 v[76:77], s[6:7], v[14:15], v[64:65]
	v_fmac_f64_e32 v[64:65], s[12:13], v[14:15]
	v_fmac_f64_e32 v[76:77], s[14:15], v[10:11]
	;; [unrolled: 1-line block ×3, first 2 shown]
	v_add_f64 v[10:11], v[60:61], v[16:17]
	v_add_f64 v[10:11], v[10:11], v[12:13]
	;; [unrolled: 1-line block ×3, first 2 shown]
	v_add_f64 v[22:23], v[70:71], -v[80:81]
	v_add_f64 v[20:21], v[20:21], -v[74:75]
	v_add_f64 v[70:71], v[10:11], v[8:9]
	v_add_f64 v[10:11], v[12:13], v[18:19]
	;; [unrolled: 1-line block ×3, first 2 shown]
	v_fma_f64 v[74:75], -0.5, v[10:11], v[60:61]
	v_add_f64 v[10:11], v[114:115], -v[116:117]
	v_fmac_f64_e32 v[76:77], s[10:11], v[20:21]
	v_fmac_f64_e32 v[64:65], s[10:11], v[20:21]
	v_fma_f64 v[78:79], s[12:13], v[10:11], v[74:75]
	v_add_f64 v[14:15], v[54:55], -v[50:51]
	v_add_f64 v[20:21], v[16:17], -v[12:13]
	;; [unrolled: 1-line block ×3, first 2 shown]
	v_fmac_f64_e32 v[74:75], s[6:7], v[10:11]
	v_fmac_f64_e32 v[78:79], s[14:15], v[14:15]
	v_add_f64 v[20:21], v[20:21], v[22:23]
	v_fmac_f64_e32 v[74:75], s[2:3], v[14:15]
	v_fmac_f64_e32 v[78:79], s[10:11], v[20:21]
	;; [unrolled: 1-line block ×3, first 2 shown]
	v_add_f64 v[20:21], v[16:17], v[8:9]
	v_fmac_f64_e32 v[60:61], -0.5, v[20:21]
	v_fma_f64 v[50:51], s[6:7], v[14:15], v[60:61]
	v_add_f64 v[12:13], v[12:13], -v[16:17]
	v_add_f64 v[8:9], v[18:19], -v[8:9]
	v_fmac_f64_e32 v[60:61], s[12:13], v[14:15]
	v_fmac_f64_e32 v[50:51], s[14:15], v[10:11]
	v_add_f64 v[8:9], v[12:13], v[8:9]
	v_fmac_f64_e32 v[60:61], s[2:3], v[10:11]
	v_fmac_f64_e32 v[50:51], s[10:11], v[8:9]
	;; [unrolled: 1-line block ×3, first 2 shown]
	v_add_f64 v[8:9], v[62:63], v[0:1]
	v_add_f64 v[8:9], v[8:9], v[2:3]
	;; [unrolled: 1-line block ×5, first 2 shown]
	v_fma_f64 v[80:81], -0.5, v[8:9], v[62:63]
	v_add_f64 v[8:9], v[34:35], -v[46:47]
	v_fma_f64 v[34:35], s[12:13], v[8:9], v[80:81]
	v_add_f64 v[10:11], v[38:39], -v[42:43]
	v_add_f64 v[12:13], v[0:1], -v[2:3]
	;; [unrolled: 1-line block ×3, first 2 shown]
	v_fmac_f64_e32 v[80:81], s[6:7], v[8:9]
	v_fmac_f64_e32 v[34:35], s[14:15], v[10:11]
	v_add_f64 v[12:13], v[12:13], v[14:15]
	v_fmac_f64_e32 v[80:81], s[2:3], v[10:11]
	v_fmac_f64_e32 v[34:35], s[10:11], v[12:13]
	;; [unrolled: 1-line block ×3, first 2 shown]
	v_add_f64 v[12:13], v[0:1], v[6:7]
	v_fmac_f64_e32 v[62:63], -0.5, v[12:13]
	v_fma_f64 v[38:39], s[6:7], v[10:11], v[62:63]
	v_add_f64 v[0:1], v[2:3], -v[0:1]
	v_add_f64 v[2:3], v[4:5], -v[6:7]
	v_fmac_f64_e32 v[62:63], s[12:13], v[10:11]
	v_fmac_f64_e32 v[38:39], s[14:15], v[8:9]
	v_add_f64 v[0:1], v[0:1], v[2:3]
	v_fmac_f64_e32 v[62:63], s[2:3], v[8:9]
	v_fmac_f64_e32 v[38:39], s[10:11], v[0:1]
	;; [unrolled: 1-line block ×3, first 2 shown]
	v_add_u32_e32 v0, 0x800, v129
	s_waitcnt lgkmcnt(0)
	s_barrier
	ds_read_b64 v[134:135], v127
	ds_read_b64 v[142:143], v129 offset:10880
	ds_read_b64 v[56:57], v129
	ds_read_b64 v[122:123], v128
	;; [unrolled: 1-line block ×3, first 2 shown]
	ds_read2_b64 v[4:7], v0 offset0:84 offset1:169
	v_add_u32_e32 v0, 0xc00, v129
	ds_read2_b64 v[12:15], v0 offset0:126 offset1:211
	v_add_u32_e32 v0, 0x1000, v129
	;; [unrolled: 2-line block ×5, first 2 shown]
	ds_read2_b64 v[0:3], v0 offset0:166 offset1:251
	s_waitcnt lgkmcnt(0)
	s_barrier
	ds_write2_b64 v49, v[66:67], v[72:73] offset1:17
	ds_write2_b64 v49, v[76:77], v[64:65] offset0:34 offset1:51
	ds_write_b64 v49, v[68:69] offset:544
	ds_write2_b64 v52, v[70:71], v[78:79] offset1:17
	ds_write2_b64 v52, v[50:51], v[60:61] offset0:34 offset1:51
	ds_write_b64 v52, v[74:75] offset:544
	;; [unrolled: 3-line block ×3, first 2 shown]
	s_and_saveexec_b64 s[2:3], s[0:1]
	s_cbranch_execz .LBB0_21
; %bb.20:
	v_add_f64 v[38:39], v[28:29], v[30:31]
	s_mov_b32 s0, 0x134454ff
	v_fma_f64 v[38:39], -0.5, v[38:39], v[58:59]
	v_add_f64 v[26:27], v[26:27], -v[44:45]
	s_mov_b32 s1, 0x3fee6f0e
	s_mov_b32 s6, 0x4755a5e
	;; [unrolled: 1-line block ×4, first 2 shown]
	v_fma_f64 v[42:43], s[0:1], v[26:27], v[38:39]
	v_add_f64 v[36:37], v[36:37], -v[40:41]
	s_mov_b32 s7, 0x3fe2cf23
	v_add_f64 v[40:41], v[24:25], -v[28:29]
	v_add_f64 v[44:45], v[32:33], -v[30:31]
	v_fmac_f64_e32 v[38:39], s[12:13], v[26:27]
	s_mov_b32 s15, 0xbfe2cf23
	s_mov_b32 s14, s6
	v_fmac_f64_e32 v[42:43], s[6:7], v[36:37]
	v_add_f64 v[40:41], v[40:41], v[44:45]
	v_fmac_f64_e32 v[38:39], s[14:15], v[36:37]
	v_fmac_f64_e32 v[42:43], s[10:11], v[40:41]
	;; [unrolled: 1-line block ×3, first 2 shown]
	v_add_f64 v[40:41], v[24:25], v[32:33]
	v_add_f64 v[34:35], v[58:59], v[24:25]
	v_fmac_f64_e32 v[58:59], -0.5, v[40:41]
	v_add_f64 v[34:35], v[34:35], v[28:29]
	v_fma_f64 v[40:41], s[12:13], v[36:37], v[58:59]
	v_add_f64 v[24:25], v[28:29], -v[24:25]
	v_add_f64 v[28:29], v[30:31], -v[32:33]
	v_fmac_f64_e32 v[58:59], s[0:1], v[36:37]
	v_fmac_f64_e32 v[40:41], s[6:7], v[26:27]
	v_add_f64 v[24:25], v[24:25], v[28:29]
	v_fmac_f64_e32 v[58:59], s[14:15], v[26:27]
	v_fmac_f64_e32 v[40:41], s[10:11], v[24:25]
	;; [unrolled: 1-line block ×3, first 2 shown]
	v_mul_lo_u16_e32 v24, 0x55, v131
	v_add_f64 v[34:35], v[34:35], v[30:31]
	v_lshlrev_b32_e32 v24, 3, v24
	v_add_f64 v[34:35], v[34:35], v[32:33]
	v_add3_u32 v24, 0, v48, v24
	ds_write2_b64 v24, v[34:35], v[42:43] offset1:17
	ds_write2_b64 v24, v[40:41], v[58:59] offset0:34 offset1:51
	ds_write_b64 v24, v[38:39] offset:544
.LBB0_21:
	s_or_b64 exec, exec, s[2:3]
	s_waitcnt lgkmcnt(0)
	s_barrier
	s_and_saveexec_b64 s[0:1], vcc
	s_cbranch_execz .LBB0_23
; %bb.22:
	v_lshlrev_b32_e32 v24, 4, v126
	v_mov_b32_e32 v25, 0
	v_lshl_add_u64 v[58:59], v[24:25], 4, s[4:5]
	global_load_dwordx4 v[24:27], v[58:59], off offset:1200
	global_load_dwordx4 v[52:55], v[58:59], off offset:1216
	;; [unrolled: 1-line block ×12, first 2 shown]
	v_add_u32_e32 v60, 0x1000, v129
	v_add_u32_e32 v61, 0xc00, v129
	;; [unrolled: 1-line block ×5, first 2 shown]
	ds_read2_b64 v[76:79], v60 offset0:168 offset1:253
	ds_read2_b64 v[84:87], v61 offset0:126 offset1:211
	ds_read2_b64 v[88:91], v62 offset0:82 offset1:167
	ds_read2_b64 v[100:103], v63 offset0:84 offset1:169
	ds_read2_b64 v[114:117], v64 offset0:124 offset1:209
	global_load_dwordx4 v[144:147], v[58:59], off offset:1104
	global_load_dwordx4 v[148:151], v[58:59], off offset:1088
	global_load_dwordx4 v[152:155], v[58:59], off offset:1328
	global_load_dwordx4 v[164:167], v[58:59], off offset:1312
	s_mov_b32 s24, 0xacd6c6b4
	s_mov_b32 s28, 0x5d8e7cdc
	s_mov_b32 s25, 0xbfc7851a
	s_mov_b32 s22, 0x7faef3
	s_mov_b32 s20, 0x4363dd80
	s_mov_b32 s29, 0x3fd71e95
	s_mov_b32 s18, 0x370991
	s_mov_b32 s23, 0xbfef7484
	s_mov_b32 s30, 0x2a9d6da3
	s_mov_b32 s21, 0xbfe0d888
	s_mov_b32 s16, 0x910ea3b9
	s_mov_b32 s19, 0x3fedd6d0
	s_mov_b32 s10, 0x6c9a05f6
	s_mov_b32 s31, 0x3fe58eea
	s_mov_b32 s12, 0x75d4884
	s_mov_b32 s17, 0xbfeb34fa
	s_mov_b32 s14, 0x7c9e640b
	s_mov_b32 s11, 0xbfe9895b
	s_mov_b32 s4, 0x6ed5f1bb
	s_mov_b32 s13, 0x3fe7a5f6
	s_mov_b32 s6, 0x923c349f
	s_mov_b32 s15, 0x3feca52d
	s_mov_b32 s0, 0x2b2883cd
	s_mov_b32 s5, 0xbfe348c8
	s_mov_b32 s7, 0xbfeec746
	s_mov_b32 s2, 0xc61f0d01
	s_mov_b32 s1, 0x3fdc86fa
	s_mov_b32 s3, 0xbfd183b1
	s_mov_b32 s48, 0xeb564b22
	s_mov_b32 s49, 0x3fefdd0d
	s_mov_b32 s26, 0x3259b75e
	s_mov_b32 s37, 0xbfefdd0d
	s_mov_b32 s36, s48
	s_mov_b32 s27, 0x3fb79ee6
	s_mov_b32 s45, 0x3fe9895b
	s_mov_b32 s44, s10
	s_mov_b32 s35, 0xbfd71e95
	s_mov_b32 s34, s28
	s_mov_b32 s41, 0x3feec746
	s_mov_b32 s40, s6
	s_mov_b32 s39, 0xbfe58eea
	s_mov_b32 s38, s30
	s_mov_b32 s47, 0x3fe0d888
	s_mov_b32 s46, s20
	s_mov_b32 s43, 0xbfeca52d
	s_mov_b32 s42, s14
	s_waitcnt vmcnt(15)
	v_mul_f64 v[58:59], v[20:21], v[24:25]
	v_mul_f64 v[20:21], v[20:21], v[26:27]
	s_waitcnt lgkmcnt(4)
	v_fmac_f64_e32 v[58:59], v[76:77], v[26:27]
	v_fma_f64 v[76:77], v[76:77], v[24:25], -v[20:21]
	ds_read_b64 v[24:25], v130
	s_waitcnt vmcnt(12)
	v_mul_f64 v[62:63], v[16:17], v[48:49]
	v_mul_f64 v[16:17], v[16:17], v[50:51]
	s_waitcnt vmcnt(11)
	v_mul_f64 v[70:71], v[12:13], v[36:37]
	s_waitcnt vmcnt(7)
	v_mul_f64 v[74:75], v[4:5], v[96:97]
	v_mul_f64 v[4:5], v[4:5], v[98:99]
	s_waitcnt lgkmcnt(2)
	v_fmac_f64_e32 v[74:75], v[100:101], v[98:99]
	v_fma_f64 v[100:101], v[100:101], v[96:97], -v[4:5]
	s_waitcnt vmcnt(6)
	v_mul_f64 v[4:5], v[10:11], v[110:111]
	v_mul_f64 v[66:67], v[18:19], v[40:41]
	;; [unrolled: 1-line block ×7, first 2 shown]
	s_waitcnt lgkmcnt(1)
	v_fma_f64 v[96:97], v[116:117], v[108:109], -v[4:5]
	v_add_u32_e32 v4, 0x2000, v129
	v_fmac_f64_e32 v[62:63], v[88:89], v[50:51]
	v_fma_f64 v[80:81], v[88:89], v[48:49], -v[16:17]
	v_fmac_f64_e32 v[70:71], v[84:85], v[38:39]
	v_fmac_f64_e32 v[66:67], v[90:91], v[42:43]
	v_fma_f64 v[88:89], v[84:85], v[36:37], -v[12:13]
	v_fma_f64 v[84:85], v[90:91], v[40:41], -v[18:19]
	v_fma_f64 v[90:91], v[102:103], v[28:29], -v[6:7]
	v_fmac_f64_e32 v[94:95], v[116:117], v[110:111]
	ds_read2_b64 v[4:7], v4 offset0:166 offset1:251
	ds_read_b64 v[116:117], v129
	ds_read_b64 v[26:27], v129 offset:10880
	s_waitcnt vmcnt(5)
	v_mul_f64 v[98:99], v[112:113], v[118:119]
	s_waitcnt vmcnt(4)
	v_mul_f64 v[108:109], v[0:1], v[136:137]
	v_mul_f64 v[0:1], v[0:1], v[138:139]
	v_fmac_f64_e32 v[72:73], v[102:103], v[30:31]
	s_waitcnt lgkmcnt(3)
	v_fmac_f64_e32 v[98:99], v[24:25], v[120:121]
	v_mul_f64 v[30:31], v[112:113], v[120:121]
	s_waitcnt lgkmcnt(2)
	v_fma_f64 v[120:121], v[4:5], v[136:137], -v[0:1]
	ds_read_b64 v[0:1], v128
	v_fma_f64 v[124:125], v[24:25], v[118:119], -v[30:31]
	ds_read_b64 v[24:25], v127
	v_mul_f64 v[64:65], v[14:15], v[44:45]
	v_mul_f64 v[14:15], v[14:15], v[46:47]
	;; [unrolled: 1-line block ×4, first 2 shown]
	v_fmac_f64_e32 v[64:65], v[86:87], v[46:47]
	v_fma_f64 v[82:83], v[86:87], v[44:45], -v[14:15]
	v_fma_f64 v[86:87], v[114:115], v[32:33], -v[8:9]
	s_waitcnt vmcnt(3)
	v_mul_f64 v[118:119], v[122:123], v[144:145]
	v_mul_f64 v[32:33], v[122:123], v[146:147]
	s_waitcnt lgkmcnt(1)
	v_fmac_f64_e32 v[118:119], v[0:1], v[146:147]
	s_waitcnt vmcnt(0)
	v_mul_f64 v[112:113], v[2:3], v[164:165]
	v_fma_f64 v[130:131], v[0:1], v[144:145], -v[32:33]
	v_mul_f64 v[0:1], v[2:3], v[166:167]
	v_mul_f64 v[128:129], v[134:135], v[148:149]
	;; [unrolled: 1-line block ×4, first 2 shown]
	s_waitcnt lgkmcnt(0)
	v_fmac_f64_e32 v[128:129], v[24:25], v[150:151]
	v_fmac_f64_e32 v[122:123], v[26:27], v[154:155]
	v_fma_f64 v[136:137], v[24:25], v[148:149], -v[2:3]
	v_mul_f64 v[2:3], v[142:143], v[154:155]
	v_fmac_f64_e32 v[112:113], v[6:7], v[166:167]
	v_add_f64 v[168:169], v[128:129], -v[122:123]
	v_fma_f64 v[134:135], v[26:27], v[152:153], -v[2:3]
	v_fmac_f64_e32 v[108:109], v[4:5], v[138:139]
	v_add_f64 v[162:163], v[118:119], -v[112:113]
	v_fma_f64 v[126:127], v[6:7], v[164:165], -v[0:1]
	v_mul_f64 v[6:7], v[168:169], s[24:25]
	v_add_f64 v[142:143], v[136:137], v[134:135]
	v_add_f64 v[158:159], v[98:99], -v[108:109]
	v_mul_f64 v[30:31], v[162:163], s[28:29]
	v_add_f64 v[140:141], v[130:131], v[126:127]
	v_fma_f64 v[2:3], s[22:23], v[142:143], v[6:7]
	v_fma_f64 v[6:7], v[142:143], s[22:23], -v[6:7]
	v_mul_f64 v[60:61], v[22:23], v[52:53]
	v_mul_f64 v[22:23], v[22:23], v[54:55]
	v_fmac_f64_e32 v[68:69], v[114:115], v[34:35]
	v_add_f64 v[132:133], v[74:75], -v[94:95]
	v_mul_f64 v[28:29], v[158:159], s[20:21]
	v_add_f64 v[138:139], v[124:125], v[120:121]
	v_fma_f64 v[0:1], s[18:19], v[140:141], v[30:31]
	v_fma_f64 v[30:31], v[140:141], s[18:19], -v[30:31]
	v_add_f64 v[6:7], v[116:117], v[6:7]
	v_fmac_f64_e32 v[60:61], v[78:79], v[54:55]
	v_fma_f64 v[78:79], v[78:79], v[52:53], -v[22:23]
	v_add_f64 v[114:115], v[72:73], -v[68:69]
	v_mul_f64 v[22:23], v[132:133], s[30:31]
	v_add_f64 v[110:111], v[100:101], v[96:97]
	v_fma_f64 v[4:5], s[16:17], v[138:139], v[28:29]
	v_add_f64 v[2:3], v[116:117], v[2:3]
	v_add_f64 v[6:7], v[30:31], v[6:7]
	v_fma_f64 v[28:29], v[138:139], s[16:17], -v[28:29]
	v_add_f64 v[54:55], v[70:71], -v[66:67]
	v_add_f64 v[106:107], v[90:91], v[86:87]
	v_mul_f64 v[14:15], v[114:115], s[10:11]
	v_fma_f64 v[10:11], s[12:13], v[110:111], v[22:23]
	v_add_f64 v[0:1], v[0:1], v[2:3]
	v_add_f64 v[6:7], v[28:29], v[6:7]
	v_fma_f64 v[22:23], v[110:111], s[12:13], -v[22:23]
	v_add_f64 v[52:53], v[64:65], -v[62:63]
	v_add_f64 v[104:105], v[88:89], v[84:85]
	v_mul_f64 v[12:13], v[54:55], s[14:15]
	v_fma_f64 v[20:21], s[4:5], v[106:107], v[14:15]
	v_add_f64 v[0:1], v[4:5], v[0:1]
	v_add_f64 v[182:183], v[136:137], -v[134:135]
	v_add_f64 v[6:7], v[22:23], v[6:7]
	v_fma_f64 v[14:15], v[106:107], s[4:5], -v[14:15]
	v_add_f64 v[102:103], v[82:83], v[80:81]
	v_mul_f64 v[8:9], v[52:53], s[6:7]
	v_fma_f64 v[18:19], s[0:1], v[104:105], v[12:13]
	v_add_f64 v[0:1], v[10:11], v[0:1]
	v_add_f64 v[178:179], v[130:131], -v[126:127]
	v_add_f64 v[156:157], v[128:129], v[122:123]
	v_mul_f64 v[24:25], v[182:183], s[24:25]
	v_add_f64 v[6:7], v[14:15], v[6:7]
	v_fma_f64 v[12:13], v[104:105], s[0:1], -v[12:13]
	v_fma_f64 v[16:17], s[2:3], v[102:103], v[8:9]
	v_add_f64 v[0:1], v[20:21], v[0:1]
	v_add_f64 v[172:173], v[124:125], -v[120:121]
	v_add_f64 v[154:155], v[118:119], v[112:113]
	v_mul_f64 v[20:21], v[178:179], s[28:29]
	v_fma_f64 v[26:27], v[156:157], s[22:23], -v[24:25]
	v_add_f64 v[6:7], v[12:13], v[6:7]
	v_fma_f64 v[8:9], v[102:103], s[2:3], -v[8:9]
	v_fmac_f64_e32 v[24:25], s[22:23], v[156:157]
	v_add_f64 v[0:1], v[18:19], v[0:1]
	v_add_f64 v[170:171], v[100:101], -v[96:97]
	v_add_f64 v[152:153], v[98:99], v[108:109]
	v_mul_f64 v[18:19], v[172:173], s[20:21]
	v_fma_f64 v[2:3], v[154:155], s[18:19], -v[20:21]
	v_add_f64 v[26:27], v[56:57], v[26:27]
	v_add_f64 v[6:7], v[8:9], v[6:7]
	v_fmac_f64_e32 v[20:21], s[18:19], v[154:155]
	v_add_f64 v[8:9], v[56:57], v[24:25]
	v_add_f64 v[0:1], v[16:17], v[0:1]
	v_add_f64 v[164:165], v[90:91], -v[86:87]
	v_add_f64 v[150:151], v[74:75], v[94:95]
	v_mul_f64 v[16:17], v[170:171], s[30:31]
	v_add_f64 v[2:3], v[2:3], v[26:27]
	v_fma_f64 v[26:27], v[152:153], s[16:17], -v[18:19]
	v_add_f64 v[8:9], v[20:21], v[8:9]
	v_fmac_f64_e32 v[18:19], s[16:17], v[152:153]
	v_add_f64 v[160:161], v[88:89], -v[84:85]
	v_add_f64 v[148:149], v[72:73], v[68:69]
	v_mul_f64 v[10:11], v[164:165], s[10:11]
	v_add_f64 v[2:3], v[26:27], v[2:3]
	v_fma_f64 v[26:27], v[150:151], s[12:13], -v[16:17]
	v_fmac_f64_e32 v[16:17], s[12:13], v[150:151]
	v_add_f64 v[8:9], v[18:19], v[8:9]
	v_add_f64 v[146:147], v[70:71], v[66:67]
	v_mul_f64 v[4:5], v[160:161], s[14:15]
	v_add_f64 v[2:3], v[26:27], v[2:3]
	v_fma_f64 v[26:27], v[148:149], s[4:5], -v[10:11]
	v_fmac_f64_e32 v[10:11], s[4:5], v[148:149]
	v_add_f64 v[8:9], v[16:17], v[8:9]
	v_mul_f64 v[20:21], v[168:169], s[20:21]
	v_add_f64 v[2:3], v[26:27], v[2:3]
	v_fma_f64 v[26:27], v[146:147], s[0:1], -v[4:5]
	v_add_f64 v[180:181], v[58:59], -v[60:61]
	v_fmac_f64_e32 v[4:5], s[0:1], v[146:147]
	v_add_f64 v[8:9], v[10:11], v[8:9]
	v_mul_f64 v[18:19], v[162:163], s[14:15]
	v_fma_f64 v[10:11], s[16:17], v[142:143], v[20:21]
	v_mul_f64 v[34:35], v[180:181], s[48:49]
	v_add_f64 v[174:175], v[76:77], v[78:79]
	v_add_f64 v[4:5], v[4:5], v[8:9]
	v_mul_f64 v[16:17], v[158:159], s[36:37]
	v_fma_f64 v[8:9], s[0:1], v[140:141], v[18:19]
	v_add_f64 v[10:11], v[116:117], v[10:11]
	v_fma_f64 v[12:13], v[174:175], s[26:27], -v[34:35]
	v_mul_f64 v[14:15], v[132:133], s[44:45]
	v_add_f64 v[8:9], v[8:9], v[10:11]
	v_fma_f64 v[10:11], s[26:27], v[138:139], v[16:17]
	v_add_f64 v[176:177], v[82:83], -v[80:81]
	v_add_f64 v[6:7], v[12:13], v[6:7]
	v_mul_f64 v[12:13], v[114:115], s[34:35]
	v_add_f64 v[8:9], v[10:11], v[8:9]
	v_fma_f64 v[10:11], s[4:5], v[110:111], v[14:15]
	v_add_f64 v[144:145], v[64:65], v[62:63]
	v_add_f64 v[2:3], v[26:27], v[2:3]
	v_mul_f64 v[26:27], v[176:177], s[6:7]
	v_add_f64 v[8:9], v[10:11], v[8:9]
	v_fma_f64 v[10:11], s[18:19], v[106:107], v[12:13]
	v_mul_f64 v[22:23], v[54:55], s[24:25]
	v_fma_f64 v[32:33], v[144:145], s[2:3], -v[26:27]
	v_fmac_f64_e32 v[26:27], s[2:3], v[144:145]
	v_add_f64 v[8:9], v[10:11], v[8:9]
	v_fma_f64 v[10:11], s[22:23], v[104:105], v[22:23]
	v_mul_f64 v[24:25], v[52:53], s[30:31]
	v_add_f64 v[4:5], v[26:27], v[4:5]
	v_add_f64 v[8:9], v[10:11], v[8:9]
	v_fma_f64 v[10:11], s[12:13], v[102:103], v[24:25]
	v_mul_f64 v[26:27], v[182:183], s[20:21]
	v_fma_f64 v[20:21], v[142:143], s[16:17], -v[20:21]
	v_add_f64 v[184:185], v[76:77], -v[78:79]
	v_add_f64 v[8:9], v[10:11], v[8:9]
	v_fma_f64 v[10:11], v[156:157], s[16:17], -v[26:27]
	v_mul_f64 v[28:29], v[178:179], s[14:15]
	v_fma_f64 v[18:19], v[140:141], s[0:1], -v[18:19]
	v_add_f64 v[20:21], v[116:117], v[20:21]
	v_add_f64 v[32:33], v[32:33], v[2:3]
	v_fma_f64 v[2:3], s[26:27], v[174:175], v[34:35]
	v_add_f64 v[166:167], v[58:59], v[60:61]
	v_mul_f64 v[36:37], v[184:185], s[48:49]
	v_add_f64 v[10:11], v[56:57], v[10:11]
	v_fma_f64 v[30:31], v[154:155], s[0:1], -v[28:29]
	v_add_f64 v[18:19], v[18:19], v[20:21]
	v_fma_f64 v[16:17], v[138:139], s[26:27], -v[16:17]
	;; [unrolled: 2-line block ×3, first 2 shown]
	v_add_f64 v[10:11], v[30:31], v[10:11]
	v_mul_f64 v[30:31], v[172:173], s[36:37]
	v_add_f64 v[16:17], v[16:17], v[18:19]
	v_fma_f64 v[14:15], v[110:111], s[4:5], -v[14:15]
	v_add_f64 v[0:1], v[0:1], v[32:33]
	v_fma_f64 v[32:33], v[152:153], s[26:27], -v[30:31]
	;; [unrolled: 2-line block ×3, first 2 shown]
	v_add_f64 v[10:11], v[32:33], v[10:11]
	v_mul_f64 v[32:33], v[170:171], s[44:45]
	v_add_f64 v[12:13], v[12:13], v[14:15]
	v_fma_f64 v[14:15], v[104:105], s[22:23], -v[22:23]
	v_fma_f64 v[34:35], v[150:151], s[4:5], -v[32:33]
	v_add_f64 v[12:13], v[14:15], v[12:13]
	v_fma_f64 v[14:15], v[102:103], s[12:13], -v[24:25]
	v_fmac_f64_e32 v[26:27], s[16:17], v[156:157]
	v_fmac_f64_e32 v[36:37], s[26:27], v[166:167]
	v_add_f64 v[10:11], v[34:35], v[10:11]
	v_mul_f64 v[34:35], v[164:165], s[34:35]
	v_add_f64 v[12:13], v[14:15], v[12:13]
	v_fmac_f64_e32 v[28:29], s[0:1], v[154:155]
	v_add_f64 v[14:15], v[56:57], v[26:27]
	v_add_f64 v[4:5], v[36:37], v[4:5]
	v_fma_f64 v[36:37], v[148:149], s[18:19], -v[34:35]
	v_add_f64 v[14:15], v[28:29], v[14:15]
	v_fmac_f64_e32 v[30:31], s[26:27], v[152:153]
	v_add_f64 v[10:11], v[36:37], v[10:11]
	v_mul_f64 v[36:37], v[160:161], s[24:25]
	v_add_f64 v[14:15], v[30:31], v[14:15]
	v_fmac_f64_e32 v[32:33], s[4:5], v[150:151]
	v_fma_f64 v[38:39], v[146:147], s[22:23], -v[36:37]
	v_add_f64 v[14:15], v[32:33], v[14:15]
	v_fmac_f64_e32 v[34:35], s[18:19], v[148:149]
	v_add_f64 v[10:11], v[38:39], v[10:11]
	v_mul_f64 v[38:39], v[176:177], s[30:31]
	v_mul_f64 v[42:43], v[180:181], s[6:7]
	v_add_f64 v[14:15], v[34:35], v[14:15]
	v_fmac_f64_e32 v[36:37], s[22:23], v[146:147]
	v_fma_f64 v[40:41], v[144:145], s[12:13], -v[38:39]
	v_add_f64 v[16:17], v[36:37], v[14:15]
	v_fma_f64 v[14:15], v[174:175], s[2:3], -v[42:43]
	v_fmac_f64_e32 v[38:39], s[12:13], v[144:145]
	v_mul_f64 v[22:23], v[168:169], s[10:11]
	v_add_f64 v[14:15], v[14:15], v[12:13]
	v_add_f64 v[12:13], v[38:39], v[16:17]
	v_mul_f64 v[20:21], v[162:163], s[40:41]
	v_fma_f64 v[16:17], s[4:5], v[142:143], v[22:23]
	v_add_f64 v[16:17], v[116:117], v[16:17]
	v_fma_f64 v[18:19], s[2:3], v[140:141], v[20:21]
	v_mul_f64 v[24:25], v[158:159], s[34:35]
	v_add_f64 v[16:17], v[18:19], v[16:17]
	v_fma_f64 v[18:19], s[18:19], v[138:139], v[24:25]
	v_mul_f64 v[26:27], v[132:133], s[20:21]
	;; [unrolled: 3-line block ×6, first 2 shown]
	v_add_f64 v[16:17], v[18:19], v[16:17]
	v_fma_f64 v[18:19], v[156:157], s[4:5], -v[34:35]
	v_mul_f64 v[36:37], v[178:179], s[40:41]
	v_fma_f64 v[22:23], v[142:143], s[4:5], -v[22:23]
	v_add_f64 v[40:41], v[40:41], v[10:11]
	v_fma_f64 v[10:11], s[2:3], v[174:175], v[42:43]
	v_mul_f64 v[44:45], v[184:185], s[6:7]
	v_add_f64 v[18:19], v[56:57], v[18:19]
	v_fma_f64 v[38:39], v[154:155], s[2:3], -v[36:37]
	v_fma_f64 v[20:21], v[140:141], s[2:3], -v[20:21]
	v_add_f64 v[22:23], v[116:117], v[22:23]
	v_add_f64 v[10:11], v[10:11], v[8:9]
	v_fma_f64 v[8:9], v[166:167], s[2:3], -v[44:45]
	v_add_f64 v[18:19], v[38:39], v[18:19]
	v_mul_f64 v[38:39], v[172:173], s[34:35]
	v_add_f64 v[20:21], v[20:21], v[22:23]
	v_fma_f64 v[22:23], v[138:139], s[18:19], -v[24:25]
	v_add_f64 v[8:9], v[8:9], v[40:41]
	v_fma_f64 v[40:41], v[152:153], s[18:19], -v[38:39]
	;; [unrolled: 2-line block ×3, first 2 shown]
	v_add_f64 v[18:19], v[40:41], v[18:19]
	v_mul_f64 v[40:41], v[170:171], s[20:21]
	v_add_f64 v[20:21], v[22:23], v[20:21]
	v_fma_f64 v[22:23], v[106:107], s[26:27], -v[28:29]
	v_fma_f64 v[42:43], v[150:151], s[16:17], -v[40:41]
	v_add_f64 v[20:21], v[22:23], v[20:21]
	v_fma_f64 v[22:23], v[104:105], s[12:13], -v[30:31]
	v_fmac_f64_e32 v[44:45], s[2:3], v[166:167]
	v_add_f64 v[18:19], v[42:43], v[18:19]
	v_mul_f64 v[42:43], v[164:165], s[48:49]
	v_add_f64 v[20:21], v[22:23], v[20:21]
	v_fma_f64 v[22:23], v[102:103], s[22:23], -v[32:33]
	v_fmac_f64_e32 v[34:35], s[4:5], v[156:157]
	v_add_f64 v[12:13], v[44:45], v[12:13]
	v_fma_f64 v[44:45], v[148:149], s[26:27], -v[42:43]
	v_add_f64 v[20:21], v[22:23], v[20:21]
	v_fmac_f64_e32 v[36:37], s[2:3], v[154:155]
	v_add_f64 v[22:23], v[56:57], v[34:35]
	v_add_f64 v[18:19], v[44:45], v[18:19]
	v_mul_f64 v[44:45], v[160:161], s[38:39]
	v_add_f64 v[22:23], v[36:37], v[22:23]
	v_fmac_f64_e32 v[38:39], s[18:19], v[152:153]
	v_fma_f64 v[46:47], v[146:147], s[12:13], -v[44:45]
	v_add_f64 v[22:23], v[38:39], v[22:23]
	v_fmac_f64_e32 v[40:41], s[16:17], v[150:151]
	v_add_f64 v[18:19], v[46:47], v[18:19]
	v_mul_f64 v[46:47], v[176:177], s[24:25]
	v_add_f64 v[22:23], v[40:41], v[22:23]
	v_fmac_f64_e32 v[42:43], s[26:27], v[148:149]
	v_fma_f64 v[48:49], v[144:145], s[22:23], -v[46:47]
	v_mul_f64 v[50:51], v[180:181], s[14:15]
	v_add_f64 v[22:23], v[42:43], v[22:23]
	v_fmac_f64_e32 v[44:45], s[12:13], v[146:147]
	v_add_f64 v[48:49], v[48:49], v[18:19]
	v_fma_f64 v[18:19], s[0:1], v[174:175], v[50:51]
	v_mul_f64 v[188:189], v[184:185], s[14:15]
	v_add_f64 v[22:23], v[44:45], v[22:23]
	v_fmac_f64_e32 v[46:47], s[22:23], v[144:145]
	v_add_f64 v[18:19], v[18:19], v[16:17]
	v_fma_f64 v[16:17], v[166:167], s[0:1], -v[188:189]
	v_add_f64 v[24:25], v[46:47], v[22:23]
	v_fma_f64 v[22:23], v[174:175], s[0:1], -v[50:51]
	v_fmac_f64_e32 v[188:189], s[0:1], v[166:167]
	v_mul_f64 v[28:29], v[168:169], s[6:7]
	v_add_f64 v[22:23], v[22:23], v[20:21]
	v_add_f64 v[20:21], v[188:189], v[24:25]
	v_fma_f64 v[24:25], s[2:3], v[142:143], v[28:29]
	v_mul_f64 v[30:31], v[162:163], s[46:47]
	v_add_f64 v[24:25], v[116:117], v[24:25]
	v_fma_f64 v[26:27], s[16:17], v[140:141], v[30:31]
	v_mul_f64 v[32:33], v[158:159], s[30:31]
	;; [unrolled: 3-line block ×7, first 2 shown]
	v_add_f64 v[24:25], v[26:27], v[24:25]
	v_fma_f64 v[26:27], v[156:157], s[2:3], -v[42:43]
	v_mul_f64 v[44:45], v[178:179], s[46:47]
	v_fma_f64 v[28:29], v[142:143], s[2:3], -v[28:29]
	v_add_f64 v[26:27], v[56:57], v[26:27]
	v_fma_f64 v[46:47], v[154:155], s[16:17], -v[44:45]
	v_fma_f64 v[30:31], v[140:141], s[16:17], -v[30:31]
	v_add_f64 v[28:29], v[116:117], v[28:29]
	v_add_f64 v[26:27], v[46:47], v[26:27]
	v_mul_f64 v[46:47], v[172:173], s[30:31]
	v_add_f64 v[28:29], v[30:31], v[28:29]
	v_fma_f64 v[30:31], v[138:139], s[12:13], -v[32:33]
	v_add_f64 v[16:17], v[16:17], v[48:49]
	v_fma_f64 v[48:49], v[152:153], s[12:13], -v[46:47]
	;; [unrolled: 2-line block ×3, first 2 shown]
	v_add_f64 v[26:27], v[48:49], v[26:27]
	v_mul_f64 v[48:49], v[170:171], s[42:43]
	v_add_f64 v[28:29], v[30:31], v[28:29]
	v_fma_f64 v[30:31], v[106:107], s[22:23], -v[36:37]
	v_fma_f64 v[50:51], v[150:151], s[0:1], -v[48:49]
	v_add_f64 v[28:29], v[30:31], v[28:29]
	v_fma_f64 v[30:31], v[104:105], s[26:27], -v[38:39]
	v_add_f64 v[26:27], v[50:51], v[26:27]
	v_mul_f64 v[50:51], v[164:165], s[24:25]
	v_add_f64 v[28:29], v[30:31], v[28:29]
	v_fma_f64 v[30:31], v[102:103], s[18:19], -v[40:41]
	v_fmac_f64_e32 v[42:43], s[2:3], v[156:157]
	v_fma_f64 v[188:189], v[148:149], s[22:23], -v[50:51]
	v_add_f64 v[28:29], v[30:31], v[28:29]
	v_fmac_f64_e32 v[44:45], s[16:17], v[154:155]
	v_add_f64 v[30:31], v[56:57], v[42:43]
	v_add_f64 v[26:27], v[188:189], v[26:27]
	v_mul_f64 v[188:189], v[160:161], s[48:49]
	v_add_f64 v[30:31], v[44:45], v[30:31]
	v_fmac_f64_e32 v[46:47], s[12:13], v[152:153]
	v_fma_f64 v[190:191], v[146:147], s[26:27], -v[188:189]
	v_add_f64 v[30:31], v[46:47], v[30:31]
	v_fmac_f64_e32 v[48:49], s[0:1], v[150:151]
	v_add_f64 v[26:27], v[190:191], v[26:27]
	v_mul_f64 v[190:191], v[176:177], s[34:35]
	v_add_f64 v[30:31], v[48:49], v[30:31]
	v_fmac_f64_e32 v[50:51], s[22:23], v[148:149]
	v_fma_f64 v[192:193], v[144:145], s[18:19], -v[190:191]
	v_mul_f64 v[194:195], v[180:181], s[10:11]
	v_add_f64 v[30:31], v[50:51], v[30:31]
	v_fmac_f64_e32 v[188:189], s[26:27], v[146:147]
	v_add_f64 v[192:193], v[192:193], v[26:27]
	v_fma_f64 v[26:27], s[4:5], v[174:175], v[194:195]
	v_mul_f64 v[196:197], v[184:185], s[10:11]
	v_add_f64 v[30:31], v[188:189], v[30:31]
	v_fmac_f64_e32 v[190:191], s[18:19], v[144:145]
	v_fma_f64 v[32:33], v[174:175], s[4:5], -v[194:195]
	v_mul_f64 v[36:37], v[168:169], s[36:37]
	v_add_f64 v[26:27], v[26:27], v[24:25]
	v_fma_f64 v[24:25], v[166:167], s[4:5], -v[196:197]
	v_add_f64 v[30:31], v[190:191], v[30:31]
	v_add_f64 v[34:35], v[32:33], v[28:29]
	v_fmac_f64_e32 v[196:197], s[4:5], v[166:167]
	v_fma_f64 v[28:29], s[26:27], v[142:143], v[36:37]
	v_mul_f64 v[38:39], v[162:163], s[24:25]
	v_add_f64 v[32:33], v[196:197], v[30:31]
	v_add_f64 v[28:29], v[116:117], v[28:29]
	v_fma_f64 v[30:31], s[22:23], v[140:141], v[38:39]
	v_mul_f64 v[40:41], v[158:159], s[40:41]
	v_add_f64 v[28:29], v[30:31], v[28:29]
	v_fma_f64 v[30:31], s[2:3], v[138:139], v[40:41]
	v_mul_f64 v[42:43], v[132:133], s[28:29]
	;; [unrolled: 3-line block ×6, first 2 shown]
	v_add_f64 v[28:29], v[30:31], v[28:29]
	v_fma_f64 v[30:31], v[156:157], s[26:27], -v[50:51]
	v_mul_f64 v[188:189], v[178:179], s[24:25]
	v_fma_f64 v[36:37], v[142:143], s[26:27], -v[36:37]
	v_add_f64 v[30:31], v[56:57], v[30:31]
	v_fma_f64 v[190:191], v[154:155], s[22:23], -v[188:189]
	v_fma_f64 v[38:39], v[140:141], s[22:23], -v[38:39]
	v_add_f64 v[36:37], v[116:117], v[36:37]
	v_add_f64 v[30:31], v[190:191], v[30:31]
	v_mul_f64 v[190:191], v[172:173], s[40:41]
	v_add_f64 v[36:37], v[38:39], v[36:37]
	v_fma_f64 v[38:39], v[138:139], s[2:3], -v[40:41]
	v_add_f64 v[24:25], v[24:25], v[192:193]
	v_fma_f64 v[192:193], v[152:153], s[2:3], -v[190:191]
	;; [unrolled: 2-line block ×3, first 2 shown]
	v_add_f64 v[30:31], v[192:193], v[30:31]
	v_mul_f64 v[192:193], v[170:171], s[28:29]
	v_add_f64 v[36:37], v[38:39], v[36:37]
	v_fma_f64 v[38:39], v[106:107], s[0:1], -v[44:45]
	v_fma_f64 v[194:195], v[150:151], s[18:19], -v[192:193]
	v_add_f64 v[36:37], v[38:39], v[36:37]
	v_fma_f64 v[38:39], v[104:105], s[16:17], -v[46:47]
	v_add_f64 v[30:31], v[194:195], v[30:31]
	v_mul_f64 v[194:195], v[164:165], s[42:43]
	v_add_f64 v[36:37], v[38:39], v[36:37]
	v_fma_f64 v[38:39], v[102:103], s[4:5], -v[48:49]
	v_fmac_f64_e32 v[50:51], s[26:27], v[156:157]
	v_fma_f64 v[196:197], v[148:149], s[0:1], -v[194:195]
	v_add_f64 v[36:37], v[38:39], v[36:37]
	v_fmac_f64_e32 v[188:189], s[22:23], v[154:155]
	v_add_f64 v[38:39], v[56:57], v[50:51]
	v_add_f64 v[30:31], v[196:197], v[30:31]
	v_mul_f64 v[196:197], v[160:161], s[20:21]
	v_add_f64 v[38:39], v[188:189], v[38:39]
	v_fmac_f64_e32 v[190:191], s[2:3], v[152:153]
	v_fma_f64 v[198:199], v[146:147], s[16:17], -v[196:197]
	v_add_f64 v[38:39], v[190:191], v[38:39]
	v_fmac_f64_e32 v[192:193], s[18:19], v[150:151]
	v_add_f64 v[30:31], v[198:199], v[30:31]
	v_mul_f64 v[198:199], v[176:177], s[44:45]
	v_add_f64 v[38:39], v[192:193], v[38:39]
	v_fmac_f64_e32 v[194:195], s[0:1], v[148:149]
	v_fma_f64 v[200:201], v[144:145], s[4:5], -v[198:199]
	v_mul_f64 v[202:203], v[180:181], s[30:31]
	v_add_f64 v[38:39], v[194:195], v[38:39]
	v_fmac_f64_e32 v[196:197], s[16:17], v[146:147]
	v_add_f64 v[200:201], v[200:201], v[30:31]
	v_fma_f64 v[30:31], s[12:13], v[174:175], v[202:203]
	v_mul_f64 v[204:205], v[184:185], s[30:31]
	v_add_f64 v[38:39], v[196:197], v[38:39]
	v_fmac_f64_e32 v[198:199], s[4:5], v[144:145]
	v_fma_f64 v[40:41], v[174:175], s[12:13], -v[202:203]
	v_mul_f64 v[44:45], v[168:169], s[42:43]
	v_add_f64 v[30:31], v[30:31], v[28:29]
	v_fma_f64 v[28:29], v[166:167], s[12:13], -v[204:205]
	v_add_f64 v[38:39], v[198:199], v[38:39]
	v_add_f64 v[42:43], v[40:41], v[36:37]
	v_fmac_f64_e32 v[204:205], s[12:13], v[166:167]
	v_fma_f64 v[36:37], s[0:1], v[142:143], v[44:45]
	v_mul_f64 v[46:47], v[162:163], s[10:11]
	s_mov_b32 s45, 0x3fc7851a
	s_mov_b32 s44, s24
	v_add_f64 v[40:41], v[204:205], v[38:39]
	v_add_f64 v[36:37], v[116:117], v[36:37]
	v_fma_f64 v[38:39], s[4:5], v[140:141], v[46:47]
	v_mul_f64 v[48:49], v[158:159], s[44:45]
	v_add_f64 v[36:37], v[38:39], v[36:37]
	v_fma_f64 v[38:39], s[22:23], v[138:139], v[48:49]
	v_mul_f64 v[50:51], v[132:133], s[40:41]
	;; [unrolled: 3-line block ×6, first 2 shown]
	v_add_f64 v[36:37], v[38:39], v[36:37]
	v_fma_f64 v[38:39], v[156:157], s[0:1], -v[194:195]
	v_mul_f64 v[196:197], v[178:179], s[10:11]
	v_fma_f64 v[44:45], v[142:143], s[0:1], -v[44:45]
	v_add_f64 v[38:39], v[56:57], v[38:39]
	v_fma_f64 v[198:199], v[154:155], s[4:5], -v[196:197]
	v_fma_f64 v[46:47], v[140:141], s[4:5], -v[46:47]
	v_add_f64 v[44:45], v[116:117], v[44:45]
	v_add_f64 v[38:39], v[198:199], v[38:39]
	v_mul_f64 v[198:199], v[172:173], s[44:45]
	v_add_f64 v[44:45], v[46:47], v[44:45]
	v_fma_f64 v[46:47], v[138:139], s[22:23], -v[48:49]
	v_add_f64 v[28:29], v[28:29], v[200:201]
	v_fma_f64 v[200:201], v[152:153], s[22:23], -v[198:199]
	;; [unrolled: 2-line block ×3, first 2 shown]
	v_add_f64 v[38:39], v[200:201], v[38:39]
	v_mul_f64 v[200:201], v[170:171], s[40:41]
	v_add_f64 v[44:45], v[46:47], v[44:45]
	v_fma_f64 v[46:47], v[106:107], s[12:13], -v[188:189]
	v_fma_f64 v[202:203], v[150:151], s[2:3], -v[200:201]
	v_add_f64 v[44:45], v[46:47], v[44:45]
	v_fma_f64 v[46:47], v[104:105], s[18:19], -v[190:191]
	v_add_f64 v[38:39], v[202:203], v[38:39]
	v_mul_f64 v[202:203], v[164:165], s[30:31]
	v_add_f64 v[44:45], v[46:47], v[44:45]
	v_fma_f64 v[46:47], v[102:103], s[26:27], -v[192:193]
	v_fmac_f64_e32 v[194:195], s[0:1], v[156:157]
	v_fma_f64 v[204:205], v[148:149], s[12:13], -v[202:203]
	v_add_f64 v[44:45], v[46:47], v[44:45]
	v_fmac_f64_e32 v[196:197], s[4:5], v[154:155]
	v_add_f64 v[46:47], v[56:57], v[194:195]
	v_add_f64 v[38:39], v[204:205], v[38:39]
	v_mul_f64 v[204:205], v[160:161], s[34:35]
	v_add_f64 v[46:47], v[196:197], v[46:47]
	v_fmac_f64_e32 v[198:199], s[22:23], v[152:153]
	v_fma_f64 v[206:207], v[146:147], s[18:19], -v[204:205]
	v_add_f64 v[46:47], v[198:199], v[46:47]
	v_fmac_f64_e32 v[200:201], s[2:3], v[150:151]
	v_add_f64 v[38:39], v[206:207], v[38:39]
	v_mul_f64 v[206:207], v[176:177], s[36:37]
	v_add_f64 v[46:47], v[200:201], v[46:47]
	v_fmac_f64_e32 v[202:203], s[12:13], v[148:149]
	v_fma_f64 v[208:209], v[144:145], s[26:27], -v[206:207]
	v_mul_f64 v[210:211], v[180:181], s[20:21]
	v_add_f64 v[46:47], v[202:203], v[46:47]
	v_fmac_f64_e32 v[204:205], s[18:19], v[146:147]
	v_add_f64 v[208:209], v[208:209], v[38:39]
	v_fma_f64 v[38:39], s[16:17], v[174:175], v[210:211]
	v_mul_f64 v[212:213], v[184:185], s[20:21]
	v_add_f64 v[46:47], v[204:205], v[46:47]
	v_fmac_f64_e32 v[206:207], s[26:27], v[144:145]
	v_fma_f64 v[48:49], v[174:175], s[16:17], -v[210:211]
	v_mul_f64 v[188:189], v[168:169], s[38:39]
	v_add_f64 v[38:39], v[38:39], v[36:37]
	v_fma_f64 v[36:37], v[166:167], s[16:17], -v[212:213]
	v_add_f64 v[46:47], v[206:207], v[46:47]
	v_add_f64 v[50:51], v[48:49], v[44:45]
	v_fmac_f64_e32 v[212:213], s[16:17], v[166:167]
	v_fma_f64 v[44:45], s[12:13], v[142:143], v[188:189]
	v_mul_f64 v[190:191], v[162:163], s[36:37]
	v_add_f64 v[48:49], v[212:213], v[46:47]
	v_add_f64 v[44:45], v[116:117], v[44:45]
	v_fma_f64 v[46:47], s[26:27], v[140:141], v[190:191]
	v_mul_f64 v[192:193], v[158:159], s[10:11]
	v_add_f64 v[44:45], v[46:47], v[44:45]
	v_fma_f64 v[46:47], s[4:5], v[138:139], v[192:193]
	v_mul_f64 v[194:195], v[132:133], s[24:25]
	;; [unrolled: 3-line block ×6, first 2 shown]
	v_add_f64 v[44:45], v[46:47], v[44:45]
	v_fma_f64 v[46:47], v[156:157], s[12:13], -v[202:203]
	v_mul_f64 v[204:205], v[178:179], s[36:37]
	v_fma_f64 v[188:189], v[142:143], s[12:13], -v[188:189]
	v_add_f64 v[46:47], v[56:57], v[46:47]
	v_fma_f64 v[206:207], v[154:155], s[26:27], -v[204:205]
	v_fma_f64 v[190:191], v[140:141], s[26:27], -v[190:191]
	v_add_f64 v[188:189], v[116:117], v[188:189]
	v_add_f64 v[46:47], v[206:207], v[46:47]
	v_mul_f64 v[206:207], v[172:173], s[10:11]
	v_add_f64 v[188:189], v[190:191], v[188:189]
	v_fma_f64 v[190:191], v[138:139], s[4:5], -v[192:193]
	v_add_f64 v[36:37], v[36:37], v[208:209]
	v_fma_f64 v[208:209], v[152:153], s[4:5], -v[206:207]
	;; [unrolled: 2-line block ×3, first 2 shown]
	v_add_f64 v[46:47], v[208:209], v[46:47]
	v_mul_f64 v[208:209], v[170:171], s[24:25]
	v_add_f64 v[188:189], v[190:191], v[188:189]
	v_fma_f64 v[190:191], v[106:107], s[16:17], -v[196:197]
	v_fma_f64 v[210:211], v[150:151], s[22:23], -v[208:209]
	v_add_f64 v[188:189], v[190:191], v[188:189]
	v_fma_f64 v[190:191], v[104:105], s[2:3], -v[198:199]
	v_add_f64 v[46:47], v[210:211], v[46:47]
	v_mul_f64 v[210:211], v[164:165], s[46:47]
	v_add_f64 v[188:189], v[190:191], v[188:189]
	v_fma_f64 v[190:191], v[102:103], s[0:1], -v[200:201]
	v_fmac_f64_e32 v[202:203], s[12:13], v[156:157]
	v_fma_f64 v[212:213], v[148:149], s[16:17], -v[210:211]
	v_add_f64 v[188:189], v[190:191], v[188:189]
	v_fmac_f64_e32 v[204:205], s[26:27], v[154:155]
	v_add_f64 v[190:191], v[56:57], v[202:203]
	v_add_f64 v[46:47], v[212:213], v[46:47]
	v_mul_f64 v[212:213], v[160:161], s[40:41]
	v_add_f64 v[190:191], v[204:205], v[190:191]
	v_fmac_f64_e32 v[206:207], s[4:5], v[152:153]
	v_fma_f64 v[214:215], v[146:147], s[2:3], -v[212:213]
	v_add_f64 v[190:191], v[206:207], v[190:191]
	v_fmac_f64_e32 v[208:209], s[22:23], v[150:151]
	v_add_f64 v[46:47], v[214:215], v[46:47]
	v_mul_f64 v[214:215], v[176:177], s[14:15]
	v_add_f64 v[190:191], v[208:209], v[190:191]
	v_fmac_f64_e32 v[210:211], s[16:17], v[148:149]
	v_fma_f64 v[216:217], v[144:145], s[0:1], -v[214:215]
	v_mul_f64 v[218:219], v[180:181], s[28:29]
	v_add_f64 v[190:191], v[210:211], v[190:191]
	v_fmac_f64_e32 v[212:213], s[2:3], v[146:147]
	v_add_f64 v[216:217], v[216:217], v[46:47]
	v_fma_f64 v[46:47], s[18:19], v[174:175], v[218:219]
	v_mul_f64 v[220:221], v[184:185], s[28:29]
	v_add_f64 v[190:191], v[212:213], v[190:191]
	v_fmac_f64_e32 v[214:215], s[0:1], v[144:145]
	v_add_f64 v[46:47], v[46:47], v[44:45]
	v_fma_f64 v[44:45], v[166:167], s[18:19], -v[220:221]
	v_add_f64 v[192:193], v[214:215], v[190:191]
	v_fma_f64 v[190:191], v[174:175], s[18:19], -v[218:219]
	v_fmac_f64_e32 v[220:221], s[18:19], v[166:167]
	v_mul_f64 v[168:169], v[168:169], s[34:35]
	v_add_f64 v[190:191], v[190:191], v[188:189]
	v_add_f64 v[188:189], v[220:221], v[192:193]
	v_mul_f64 v[162:163], v[162:163], s[38:39]
	v_fma_f64 v[192:193], s[18:19], v[142:143], v[168:169]
	v_add_f64 v[192:193], v[116:117], v[192:193]
	v_fma_f64 v[194:195], s[12:13], v[140:141], v[162:163]
	v_mul_f64 v[158:159], v[158:159], s[42:43]
	v_add_f64 v[192:193], v[194:195], v[192:193]
	v_fma_f64 v[194:195], s[0:1], v[138:139], v[158:159]
	v_mul_f64 v[132:133], v[132:133], s[36:37]
	;; [unrolled: 3-line block ×3, first 2 shown]
	v_add_f64 v[192:193], v[194:195], v[192:193]
	v_fma_f64 v[194:195], s[2:3], v[106:107], v[114:115]
	v_add_f64 v[192:193], v[194:195], v[192:193]
	v_mul_f64 v[194:195], v[54:55], s[10:11]
	v_fma_f64 v[54:55], s[4:5], v[104:105], v[194:195]
	v_add_f64 v[54:55], v[54:55], v[192:193]
	v_mul_f64 v[192:193], v[52:53], s[20:21]
	v_fma_f64 v[52:53], s[16:17], v[102:103], v[192:193]
	v_mul_f64 v[182:183], v[182:183], s[34:35]
	v_add_f64 v[52:53], v[52:53], v[54:55]
	v_mul_f64 v[178:179], v[178:179], s[38:39]
	v_fma_f64 v[54:55], v[156:157], s[18:19], -v[182:183]
	v_fma_f64 v[106:107], v[106:107], s[2:3], -v[114:115]
	;; [unrolled: 1-line block ×4, first 2 shown]
	v_add_f64 v[54:55], v[56:57], v[54:55]
	v_fma_f64 v[196:197], v[154:155], s[12:13], -v[178:179]
	v_mul_f64 v[172:173], v[172:173], s[42:43]
	v_fma_f64 v[110:111], v[110:111], s[26:27], -v[132:133]
	v_fma_f64 v[132:133], v[140:141], s[12:13], -v[162:163]
	v_add_f64 v[138:139], v[116:117], v[138:139]
	v_add_f64 v[54:55], v[196:197], v[54:55]
	v_fma_f64 v[196:197], v[152:153], s[0:1], -v[172:173]
	v_mul_f64 v[170:171], v[170:171], s[36:37]
	v_add_f64 v[132:133], v[132:133], v[138:139]
	v_add_f64 v[54:55], v[196:197], v[54:55]
	v_fma_f64 v[196:197], v[150:151], s[26:27], -v[170:171]
	v_mul_f64 v[164:165], v[164:165], s[6:7]
	;; [unrolled: 4-line block ×4, first 2 shown]
	v_fma_f64 v[104:105], v[104:105], s[4:5], -v[194:195]
	v_add_f64 v[106:107], v[106:107], v[110:111]
	v_add_f64 v[54:55], v[196:197], v[54:55]
	v_fma_f64 v[196:197], v[144:145], s[16:17], -v[176:177]
	v_mul_f64 v[180:181], v[180:181], s[24:25]
	v_fma_f64 v[102:103], v[102:103], s[16:17], -v[192:193]
	v_add_f64 v[104:105], v[104:105], v[106:107]
	v_add_f64 v[196:197], v[196:197], v[54:55]
	v_fma_f64 v[54:55], s[22:23], v[174:175], v[180:181]
	v_fma_f64 v[174:175], v[174:175], s[22:23], -v[180:181]
	v_add_f64 v[102:103], v[102:103], v[104:105]
	v_fmac_f64_e32 v[182:183], s[18:19], v[156:157]
	v_add_f64 v[104:105], v[174:175], v[102:103]
	v_add_f64 v[102:103], v[56:57], v[182:183]
	;; [unrolled: 1-line block ×28, first 2 shown]
	v_fmac_f64_e32 v[172:173], s[0:1], v[152:153]
	v_add_f64 v[76:77], v[86:87], v[76:77]
	v_add_f64 v[74:75], v[122:123], v[56:57]
	v_mad_u64_u32 v[56:57], s[0:1], s8, v186, 0
	v_add_f64 v[76:77], v[96:97], v[76:77]
	v_mov_b32_e32 v58, v57
	v_fmac_f64_e32 v[178:179], s[12:13], v[154:155]
	v_add_f64 v[76:77], v[120:121], v[76:77]
	v_mad_u64_u32 v[58:59], s[0:1], s9, v186, v[58:59]
	v_add_f64 v[102:103], v[178:179], v[102:103]
	v_add_f64 v[76:77], v[126:127], v[76:77]
	v_mov_b32_e32 v57, v58
	v_fmac_f64_e32 v[170:171], s[26:27], v[150:151]
	v_add_f64 v[102:103], v[172:173], v[102:103]
	v_add_f64 v[76:77], v[134:135], v[76:77]
	v_lshl_add_u64 v[56:57], v[56:57], 4, v[92:93]
	v_add_u32_e32 v59, 0x55, v186
	v_fmac_f64_e32 v[164:165], s[2:3], v[148:149]
	v_add_f64 v[102:103], v[170:171], v[102:103]
	global_store_dwordx4 v[56:57], v[74:77], off
	v_mad_u64_u32 v[56:57], s[0:1], s8, v59, 0
	v_fmac_f64_e32 v[160:161], s[4:5], v[146:147]
	v_add_f64 v[102:103], v[164:165], v[102:103]
	v_mov_b32_e32 v58, v57
	v_mul_f64 v[184:185], v[184:185], s[24:25]
	v_fmac_f64_e32 v[176:177], s[16:17], v[144:145]
	v_add_f64 v[102:103], v[160:161], v[102:103]
	v_mad_u64_u32 v[58:59], s[0:1], s9, v59, v[58:59]
	v_add_f64 v[54:55], v[54:55], v[52:53]
	v_fma_f64 v[52:53], v[166:167], s[22:23], -v[184:185]
	v_fmac_f64_e32 v[184:185], s[22:23], v[166:167]
	v_add_f64 v[102:103], v[176:177], v[102:103]
	v_mov_b32_e32 v57, v58
	v_add_f64 v[102:103], v[184:185], v[102:103]
	v_lshl_add_u64 v[56:57], v[56:57], 4, v[92:93]
	v_add_u32_e32 v59, 0xaa, v186
	global_store_dwordx4 v[56:57], v[102:105], off
	v_mad_u64_u32 v[56:57], s[0:1], s8, v59, 0
	v_mov_b32_e32 v58, v57
	v_mad_u64_u32 v[58:59], s[0:1], s9, v59, v[58:59]
	v_mov_b32_e32 v57, v58
	v_lshl_add_u64 v[56:57], v[56:57], 4, v[92:93]
	v_add_u32_e32 v59, 0xff, v186
	global_store_dwordx4 v[56:57], v[188:191], off
	v_mad_u64_u32 v[56:57], s[0:1], s8, v59, 0
	v_mov_b32_e32 v58, v57
	v_mad_u64_u32 v[58:59], s[0:1], s9, v59, v[58:59]
	v_mov_b32_e32 v57, v58
	v_lshl_add_u64 v[56:57], v[56:57], 4, v[92:93]
	global_store_dwordx4 v[56:57], v[48:51], off
	v_add_f64 v[44:45], v[44:45], v[216:217]
	v_add_f64 v[52:53], v[52:53], v[196:197]
	v_add_u32_e32 v51, 0x154, v186
	v_mad_u64_u32 v[48:49], s[0:1], s8, v51, 0
	v_mov_b32_e32 v50, v49
	v_mad_u64_u32 v[50:51], s[0:1], s9, v51, v[50:51]
	v_mov_b32_e32 v49, v50
	v_lshl_add_u64 v[48:49], v[48:49], 4, v[92:93]
	global_store_dwordx4 v[48:49], v[40:43], off
	s_nop 1
	v_add_u32_e32 v43, 0x1a9, v186
	v_mad_u64_u32 v[40:41], s[0:1], s8, v43, 0
	v_mov_b32_e32 v42, v41
	v_mad_u64_u32 v[42:43], s[0:1], s9, v43, v[42:43]
	v_mov_b32_e32 v41, v42
	v_lshl_add_u64 v[40:41], v[40:41], 4, v[92:93]
	global_store_dwordx4 v[40:41], v[32:35], off
	s_nop 1
	v_add_u32_e32 v35, 0x1fe, v186
	v_mad_u64_u32 v[32:33], s[0:1], s8, v35, 0
	v_mov_b32_e32 v34, v33
	v_mad_u64_u32 v[34:35], s[0:1], s9, v35, v[34:35]
	v_mov_b32_e32 v33, v34
	v_lshl_add_u64 v[32:33], v[32:33], 4, v[92:93]
	global_store_dwordx4 v[32:33], v[20:23], off
	s_nop 1
	v_add_u32_e32 v23, 0x253, v186
	v_mad_u64_u32 v[20:21], s[0:1], s8, v23, 0
	v_mov_b32_e32 v22, v21
	v_mad_u64_u32 v[22:23], s[0:1], s9, v23, v[22:23]
	v_mov_b32_e32 v21, v22
	v_lshl_add_u64 v[20:21], v[20:21], 4, v[92:93]
	global_store_dwordx4 v[20:21], v[12:15], off
	s_nop 1
	v_add_u32_e32 v15, 0x2a8, v186
	v_mad_u64_u32 v[12:13], s[0:1], s8, v15, 0
	v_mov_b32_e32 v14, v13
	v_mad_u64_u32 v[14:15], s[0:1], s9, v15, v[14:15]
	v_mov_b32_e32 v13, v14
	v_lshl_add_u64 v[12:13], v[12:13], 4, v[92:93]
	global_store_dwordx4 v[12:13], v[4:7], off
	s_nop 1
	v_add_u32_e32 v7, 0x2fd, v186
	v_mad_u64_u32 v[4:5], s[0:1], s8, v7, 0
	v_mov_b32_e32 v6, v5
	v_mad_u64_u32 v[6:7], s[0:1], s9, v7, v[6:7]
	v_mov_b32_e32 v5, v6
	v_lshl_add_u64 v[4:5], v[4:5], 4, v[92:93]
	global_store_dwordx4 v[4:5], v[0:3], off
	s_nop 1
	v_add_u32_e32 v3, 0x352, v186
	v_mad_u64_u32 v[0:1], s[0:1], s8, v3, 0
	v_mov_b32_e32 v2, v1
	v_mad_u64_u32 v[2:3], s[0:1], s9, v3, v[2:3]
	v_mov_b32_e32 v1, v2
	v_lshl_add_u64 v[0:1], v[0:1], 4, v[92:93]
	v_add_u32_e32 v3, 0x3a7, v186
	global_store_dwordx4 v[0:1], v[8:11], off
	v_mad_u64_u32 v[0:1], s[0:1], s8, v3, 0
	v_mov_b32_e32 v2, v1
	v_mad_u64_u32 v[2:3], s[0:1], s9, v3, v[2:3]
	v_mov_b32_e32 v1, v2
	v_lshl_add_u64 v[0:1], v[0:1], 4, v[92:93]
	v_add_u32_e32 v3, 0x3fc, v186
	global_store_dwordx4 v[0:1], v[16:19], off
	;; [unrolled: 7-line block ×6, first 2 shown]
	v_mad_u64_u32 v[0:1], s[0:1], s8, v3, 0
	v_mov_b32_e32 v2, v1
	v_mad_u64_u32 v[2:3], s[0:1], s9, v3, v[2:3]
	v_mov_b32_e32 v1, v2
	v_lshl_add_u64 v[0:1], v[0:1], 4, v[92:93]
	global_store_dwordx4 v[0:1], v[52:55], off
.LBB0_23:
	s_endpgm
	.section	.rodata,"a",@progbits
	.p2align	6, 0x0
	.amdhsa_kernel fft_rtc_back_len1445_factors_17_5_17_wgs_85_tpt_85_halfLds_dp_ip_CI_sbrr_dirReg
		.amdhsa_group_segment_fixed_size 0
		.amdhsa_private_segment_fixed_size 0
		.amdhsa_kernarg_size 88
		.amdhsa_user_sgpr_count 2
		.amdhsa_user_sgpr_dispatch_ptr 0
		.amdhsa_user_sgpr_queue_ptr 0
		.amdhsa_user_sgpr_kernarg_segment_ptr 1
		.amdhsa_user_sgpr_dispatch_id 0
		.amdhsa_user_sgpr_kernarg_preload_length 0
		.amdhsa_user_sgpr_kernarg_preload_offset 0
		.amdhsa_user_sgpr_private_segment_size 0
		.amdhsa_uses_dynamic_stack 0
		.amdhsa_enable_private_segment 0
		.amdhsa_system_sgpr_workgroup_id_x 1
		.amdhsa_system_sgpr_workgroup_id_y 0
		.amdhsa_system_sgpr_workgroup_id_z 0
		.amdhsa_system_sgpr_workgroup_info 0
		.amdhsa_system_vgpr_workitem_id 0
		.amdhsa_next_free_vgpr 222
		.amdhsa_next_free_sgpr 58
		.amdhsa_accum_offset 224
		.amdhsa_reserve_vcc 1
		.amdhsa_float_round_mode_32 0
		.amdhsa_float_round_mode_16_64 0
		.amdhsa_float_denorm_mode_32 3
		.amdhsa_float_denorm_mode_16_64 3
		.amdhsa_dx10_clamp 1
		.amdhsa_ieee_mode 1
		.amdhsa_fp16_overflow 0
		.amdhsa_tg_split 0
		.amdhsa_exception_fp_ieee_invalid_op 0
		.amdhsa_exception_fp_denorm_src 0
		.amdhsa_exception_fp_ieee_div_zero 0
		.amdhsa_exception_fp_ieee_overflow 0
		.amdhsa_exception_fp_ieee_underflow 0
		.amdhsa_exception_fp_ieee_inexact 0
		.amdhsa_exception_int_div_zero 0
	.end_amdhsa_kernel
	.text
.Lfunc_end0:
	.size	fft_rtc_back_len1445_factors_17_5_17_wgs_85_tpt_85_halfLds_dp_ip_CI_sbrr_dirReg, .Lfunc_end0-fft_rtc_back_len1445_factors_17_5_17_wgs_85_tpt_85_halfLds_dp_ip_CI_sbrr_dirReg
                                        ; -- End function
	.section	.AMDGPU.csdata,"",@progbits
; Kernel info:
; codeLenInByte = 18564
; NumSgprs: 64
; NumVgprs: 222
; NumAgprs: 0
; TotalNumVgprs: 222
; ScratchSize: 0
; MemoryBound: 1
; FloatMode: 240
; IeeeMode: 1
; LDSByteSize: 0 bytes/workgroup (compile time only)
; SGPRBlocks: 7
; VGPRBlocks: 27
; NumSGPRsForWavesPerEU: 64
; NumVGPRsForWavesPerEU: 222
; AccumOffset: 224
; Occupancy: 2
; WaveLimiterHint : 1
; COMPUTE_PGM_RSRC2:SCRATCH_EN: 0
; COMPUTE_PGM_RSRC2:USER_SGPR: 2
; COMPUTE_PGM_RSRC2:TRAP_HANDLER: 0
; COMPUTE_PGM_RSRC2:TGID_X_EN: 1
; COMPUTE_PGM_RSRC2:TGID_Y_EN: 0
; COMPUTE_PGM_RSRC2:TGID_Z_EN: 0
; COMPUTE_PGM_RSRC2:TIDIG_COMP_CNT: 0
; COMPUTE_PGM_RSRC3_GFX90A:ACCUM_OFFSET: 55
; COMPUTE_PGM_RSRC3_GFX90A:TG_SPLIT: 0
	.text
	.p2alignl 6, 3212836864
	.fill 256, 4, 3212836864
	.type	__hip_cuid_f2d81b84b0f72d0,@object ; @__hip_cuid_f2d81b84b0f72d0
	.section	.bss,"aw",@nobits
	.globl	__hip_cuid_f2d81b84b0f72d0
__hip_cuid_f2d81b84b0f72d0:
	.byte	0                               ; 0x0
	.size	__hip_cuid_f2d81b84b0f72d0, 1

	.ident	"AMD clang version 19.0.0git (https://github.com/RadeonOpenCompute/llvm-project roc-6.4.0 25133 c7fe45cf4b819c5991fe208aaa96edf142730f1d)"
	.section	".note.GNU-stack","",@progbits
	.addrsig
	.addrsig_sym __hip_cuid_f2d81b84b0f72d0
	.amdgpu_metadata
---
amdhsa.kernels:
  - .agpr_count:     0
    .args:
      - .actual_access:  read_only
        .address_space:  global
        .offset:         0
        .size:           8
        .value_kind:     global_buffer
      - .offset:         8
        .size:           8
        .value_kind:     by_value
      - .actual_access:  read_only
        .address_space:  global
        .offset:         16
        .size:           8
        .value_kind:     global_buffer
      - .actual_access:  read_only
        .address_space:  global
        .offset:         24
        .size:           8
        .value_kind:     global_buffer
      - .offset:         32
        .size:           8
        .value_kind:     by_value
      - .actual_access:  read_only
        .address_space:  global
        .offset:         40
        .size:           8
        .value_kind:     global_buffer
      - .actual_access:  read_only
        .address_space:  global
        .offset:         48
        .size:           8
        .value_kind:     global_buffer
      - .offset:         56
        .size:           4
        .value_kind:     by_value
      - .actual_access:  read_only
        .address_space:  global
        .offset:         64
        .size:           8
        .value_kind:     global_buffer
      - .actual_access:  read_only
        .address_space:  global
        .offset:         72
        .size:           8
        .value_kind:     global_buffer
      - .address_space:  global
        .offset:         80
        .size:           8
        .value_kind:     global_buffer
    .group_segment_fixed_size: 0
    .kernarg_segment_align: 8
    .kernarg_segment_size: 88
    .language:       OpenCL C
    .language_version:
      - 2
      - 0
    .max_flat_workgroup_size: 85
    .name:           fft_rtc_back_len1445_factors_17_5_17_wgs_85_tpt_85_halfLds_dp_ip_CI_sbrr_dirReg
    .private_segment_fixed_size: 0
    .sgpr_count:     64
    .sgpr_spill_count: 0
    .symbol:         fft_rtc_back_len1445_factors_17_5_17_wgs_85_tpt_85_halfLds_dp_ip_CI_sbrr_dirReg.kd
    .uniform_work_group_size: 1
    .uses_dynamic_stack: false
    .vgpr_count:     222
    .vgpr_spill_count: 0
    .wavefront_size: 64
amdhsa.target:   amdgcn-amd-amdhsa--gfx950
amdhsa.version:
  - 1
  - 2
...

	.end_amdgpu_metadata
